;; amdgpu-corpus repo=ROCm/rocFFT kind=compiled arch=gfx906 opt=O3
	.text
	.amdgcn_target "amdgcn-amd-amdhsa--gfx906"
	.amdhsa_code_object_version 6
	.protected	bluestein_single_fwd_len637_dim1_half_op_CI_CI ; -- Begin function bluestein_single_fwd_len637_dim1_half_op_CI_CI
	.globl	bluestein_single_fwd_len637_dim1_half_op_CI_CI
	.p2align	8
	.type	bluestein_single_fwd_len637_dim1_half_op_CI_CI,@function
bluestein_single_fwd_len637_dim1_half_op_CI_CI: ; @bluestein_single_fwd_len637_dim1_half_op_CI_CI
; %bb.0:
	s_load_dwordx4 s[0:3], s[4:5], 0x28
	v_mul_u32_u24_e32 v1, 0x2d1, v0
	v_add_u32_sdwa v8, s6, v1 dst_sel:DWORD dst_unused:UNUSED_PAD src0_sel:DWORD src1_sel:WORD_1
	v_mov_b32_e32 v9, 0
	s_waitcnt lgkmcnt(0)
	v_cmp_gt_u64_e32 vcc, s[0:1], v[8:9]
	s_and_saveexec_b64 s[0:1], vcc
	s_cbranch_execz .LBB0_15
; %bb.1:
	s_load_dwordx2 s[6:7], s[4:5], 0x0
	s_load_dwordx2 s[12:13], s[4:5], 0x38
	s_movk_i32 s0, 0x5b
	v_mul_lo_u16_sdwa v1, v1, s0 dst_sel:DWORD dst_unused:UNUSED_PAD src0_sel:WORD_1 src1_sel:DWORD
	v_sub_u16_e32 v26, v0, v1
	v_cmp_gt_u16_e32 vcc, 49, v26
	v_lshlrev_b32_e32 v25, 2, v26
	s_and_saveexec_b64 s[14:15], vcc
	s_cbranch_execz .LBB0_3
; %bb.2:
	s_load_dwordx2 s[0:1], s[4:5], 0x18
	s_waitcnt lgkmcnt(0)
	s_load_dwordx4 s[8:11], s[0:1], 0x0
	s_waitcnt lgkmcnt(0)
	v_mad_u64_u32 v[0:1], s[0:1], s10, v8, 0
	v_mad_u64_u32 v[2:3], s[0:1], s8, v26, 0
	;; [unrolled: 1-line block ×4, first 2 shown]
	v_mov_b32_e32 v1, v4
	v_lshlrev_b64 v[0:1], 2, v[0:1]
	v_mov_b32_e32 v3, v5
	v_mov_b32_e32 v6, s3
	v_lshlrev_b64 v[2:3], 2, v[2:3]
	v_add_co_u32_e64 v0, s[0:1], s2, v0
	v_addc_co_u32_e64 v1, s[0:1], v6, v1, s[0:1]
	v_add_co_u32_e64 v0, s[0:1], v0, v2
	v_addc_co_u32_e64 v1, s[0:1], v1, v3, s[0:1]
	s_mul_i32 s0, s9, 0xc4
	s_mul_hi_u32 s3, s8, 0xc4
	s_mul_i32 s2, s8, 0xc4
	s_add_i32 s3, s3, s0
	global_load_dword v2, v[0:1], off
	global_load_dword v3, v25, s[6:7]
	global_load_dword v4, v25, s[6:7] offset:196
	global_load_dword v5, v25, s[6:7] offset:392
	v_mov_b32_e32 v6, s3
	v_add_co_u32_e64 v0, s[0:1], s2, v0
	v_addc_co_u32_e64 v1, s[0:1], v1, v6, s[0:1]
	global_load_dword v6, v[0:1], off
	v_mov_b32_e32 v7, s3
	v_add_co_u32_e64 v0, s[0:1], s2, v0
	v_addc_co_u32_e64 v1, s[0:1], v1, v7, s[0:1]
	global_load_dword v7, v[0:1], off
	v_mov_b32_e32 v9, s3
	v_add_co_u32_e64 v0, s[0:1], s2, v0
	v_addc_co_u32_e64 v1, s[0:1], v1, v9, s[0:1]
	global_load_dword v9, v[0:1], off
	global_load_dword v10, v25, s[6:7] offset:588
	global_load_dword v11, v25, s[6:7] offset:784
	;; [unrolled: 1-line block ×5, first 2 shown]
	v_mov_b32_e32 v15, s3
	v_add_co_u32_e64 v0, s[0:1], s2, v0
	v_addc_co_u32_e64 v1, s[0:1], v1, v15, s[0:1]
	global_load_dword v15, v[0:1], off
	v_mov_b32_e32 v16, s3
	v_add_co_u32_e64 v0, s[0:1], s2, v0
	v_addc_co_u32_e64 v1, s[0:1], v1, v16, s[0:1]
	global_load_dword v16, v[0:1], off
	;; [unrolled: 4-line block ×4, first 2 shown]
	global_load_dword v19, v25, s[6:7] offset:1568
	global_load_dword v20, v25, s[6:7] offset:1764
	;; [unrolled: 1-line block ×3, first 2 shown]
	v_mov_b32_e32 v22, s3
	v_add_co_u32_e64 v0, s[0:1], s2, v0
	v_addc_co_u32_e64 v1, s[0:1], v1, v22, s[0:1]
	global_load_dword v22, v[0:1], off
	v_mov_b32_e32 v23, s3
	v_add_co_u32_e64 v0, s[0:1], s2, v0
	v_addc_co_u32_e64 v1, s[0:1], v1, v23, s[0:1]
	global_load_dword v23, v[0:1], off
	;; [unrolled: 4-line block ×4, first 2 shown]
	global_load_dword v29, v25, s[6:7] offset:2156
	v_mov_b32_e32 v31, s3
	v_add_co_u32_e64 v0, s[0:1], s2, v0
	v_addc_co_u32_e64 v1, s[0:1], v1, v31, s[0:1]
	global_load_dword v31, v[0:1], off
	global_load_dword v32, v25, s[6:7] offset:2352
	s_waitcnt vmcnt(25)
	v_lshrrev_b32_e32 v28, 16, v2
	s_waitcnt vmcnt(24)
	v_mul_f16_sdwa v30, v3, v2 dst_sel:DWORD dst_unused:UNUSED_PAD src0_sel:WORD_1 src1_sel:DWORD
	v_mul_f16_sdwa v1, v3, v28 dst_sel:DWORD dst_unused:UNUSED_PAD src0_sel:WORD_1 src1_sel:DWORD
	v_fma_f16 v0, v3, v28, -v30
	v_fma_f16 v1, v3, v2, v1
	v_pack_b32_f16 v0, v1, v0
	s_waitcnt vmcnt(21)
	v_lshrrev_b32_e32 v2, 16, v6
	v_mul_f16_sdwa v1, v4, v6 dst_sel:DWORD dst_unused:UNUSED_PAD src0_sel:WORD_1 src1_sel:DWORD
	v_fma_f16 v1, v4, v2, -v1
	v_mul_f16_sdwa v2, v4, v2 dst_sel:DWORD dst_unused:UNUSED_PAD src0_sel:WORD_1 src1_sel:DWORD
	v_fma_f16 v2, v4, v6, v2
	v_pack_b32_f16 v1, v2, v1
	ds_write2_b32 v25, v0, v1 offset1:49
	s_waitcnt vmcnt(20)
	v_lshrrev_b32_e32 v0, 16, v7
	v_mul_f16_sdwa v1, v5, v0 dst_sel:DWORD dst_unused:UNUSED_PAD src0_sel:WORD_1 src1_sel:DWORD
	v_mul_f16_sdwa v2, v5, v7 dst_sel:DWORD dst_unused:UNUSED_PAD src0_sel:WORD_1 src1_sel:DWORD
	v_fma_f16 v1, v5, v7, v1
	v_fma_f16 v0, v5, v0, -v2
	v_pack_b32_f16 v0, v1, v0
	s_waitcnt vmcnt(19)
	v_lshrrev_b32_e32 v1, 16, v9
	s_waitcnt vmcnt(18)
	v_mul_f16_sdwa v2, v10, v1 dst_sel:DWORD dst_unused:UNUSED_PAD src0_sel:WORD_1 src1_sel:DWORD
	v_mul_f16_sdwa v3, v10, v9 dst_sel:DWORD dst_unused:UNUSED_PAD src0_sel:WORD_1 src1_sel:DWORD
	v_fma_f16 v2, v10, v9, v2
	v_fma_f16 v1, v10, v1, -v3
	v_pack_b32_f16 v1, v2, v1
	ds_write2_b32 v25, v0, v1 offset0:98 offset1:147
	s_waitcnt vmcnt(13)
	v_lshrrev_b32_e32 v0, 16, v15
	v_mul_f16_sdwa v1, v11, v0 dst_sel:DWORD dst_unused:UNUSED_PAD src0_sel:WORD_1 src1_sel:DWORD
	v_mul_f16_sdwa v2, v11, v15 dst_sel:DWORD dst_unused:UNUSED_PAD src0_sel:WORD_1 src1_sel:DWORD
	v_fma_f16 v1, v11, v15, v1
	v_fma_f16 v0, v11, v0, -v2
	v_pack_b32_f16 v0, v1, v0
	s_waitcnt vmcnt(12)
	v_lshrrev_b32_e32 v1, 16, v16
	v_mul_f16_sdwa v2, v12, v1 dst_sel:DWORD dst_unused:UNUSED_PAD src0_sel:WORD_1 src1_sel:DWORD
	v_mul_f16_sdwa v3, v12, v16 dst_sel:DWORD dst_unused:UNUSED_PAD src0_sel:WORD_1 src1_sel:DWORD
	v_fma_f16 v2, v12, v16, v2
	v_fma_f16 v1, v12, v1, -v3
	v_pack_b32_f16 v1, v2, v1
	ds_write2_b32 v25, v0, v1 offset0:196 offset1:245
	s_waitcnt vmcnt(11)
	v_lshrrev_b32_e32 v0, 16, v17
	v_mul_f16_sdwa v1, v13, v0 dst_sel:DWORD dst_unused:UNUSED_PAD src0_sel:WORD_1 src1_sel:DWORD
	v_mul_f16_sdwa v2, v13, v17 dst_sel:DWORD dst_unused:UNUSED_PAD src0_sel:WORD_1 src1_sel:DWORD
	v_fma_f16 v1, v13, v17, v1
	v_fma_f16 v0, v13, v0, -v2
	v_pack_b32_f16 v0, v1, v0
	s_waitcnt vmcnt(10)
	v_lshrrev_b32_e32 v1, 16, v18
	v_mul_f16_sdwa v2, v14, v1 dst_sel:DWORD dst_unused:UNUSED_PAD src0_sel:WORD_1 src1_sel:DWORD
	v_mul_f16_sdwa v3, v14, v18 dst_sel:DWORD dst_unused:UNUSED_PAD src0_sel:WORD_1 src1_sel:DWORD
	v_fma_f16 v2, v14, v18, v2
	v_fma_f16 v1, v14, v1, -v3
	v_pack_b32_f16 v1, v2, v1
	v_add_u32_e32 v2, 0x400, v25
	ds_write2_b32 v2, v0, v1 offset0:38 offset1:87
	s_waitcnt vmcnt(6)
	v_lshrrev_b32_e32 v0, 16, v22
	v_mul_f16_sdwa v1, v19, v0 dst_sel:DWORD dst_unused:UNUSED_PAD src0_sel:WORD_1 src1_sel:DWORD
	v_mul_f16_sdwa v3, v19, v22 dst_sel:DWORD dst_unused:UNUSED_PAD src0_sel:WORD_1 src1_sel:DWORD
	v_fma_f16 v1, v19, v22, v1
	v_fma_f16 v0, v19, v0, -v3
	v_pack_b32_f16 v0, v1, v0
	s_waitcnt vmcnt(5)
	v_lshrrev_b32_e32 v1, 16, v23
	v_mul_f16_sdwa v3, v20, v1 dst_sel:DWORD dst_unused:UNUSED_PAD src0_sel:WORD_1 src1_sel:DWORD
	v_mul_f16_sdwa v4, v20, v23 dst_sel:DWORD dst_unused:UNUSED_PAD src0_sel:WORD_1 src1_sel:DWORD
	v_fma_f16 v3, v20, v23, v3
	v_fma_f16 v1, v20, v1, -v4
	v_pack_b32_f16 v1, v3, v1
	ds_write2_b32 v2, v0, v1 offset0:136 offset1:185
	s_waitcnt vmcnt(4)
	v_lshrrev_b32_e32 v0, 16, v24
	v_mul_f16_sdwa v1, v21, v0 dst_sel:DWORD dst_unused:UNUSED_PAD src0_sel:WORD_1 src1_sel:DWORD
	v_mul_f16_sdwa v2, v21, v24 dst_sel:DWORD dst_unused:UNUSED_PAD src0_sel:WORD_1 src1_sel:DWORD
	v_fma_f16 v1, v21, v24, v1
	v_fma_f16 v0, v21, v0, -v2
	v_pack_b32_f16 v0, v1, v0
	s_waitcnt vmcnt(3)
	v_lshrrev_b32_e32 v1, 16, v27
	s_waitcnt vmcnt(2)
	v_mul_f16_sdwa v2, v29, v1 dst_sel:DWORD dst_unused:UNUSED_PAD src0_sel:WORD_1 src1_sel:DWORD
	v_mul_f16_sdwa v3, v29, v27 dst_sel:DWORD dst_unused:UNUSED_PAD src0_sel:WORD_1 src1_sel:DWORD
	v_fma_f16 v2, v29, v27, v2
	v_fma_f16 v1, v29, v1, -v3
	v_pack_b32_f16 v1, v2, v1
	v_add_u32_e32 v2, 0x600, v25
	ds_write2_b32 v2, v0, v1 offset0:106 offset1:155
	s_waitcnt vmcnt(1)
	v_lshrrev_b32_e32 v0, 16, v31
	s_waitcnt vmcnt(0)
	v_mul_f16_sdwa v1, v32, v0 dst_sel:DWORD dst_unused:UNUSED_PAD src0_sel:WORD_1 src1_sel:DWORD
	v_mul_f16_sdwa v2, v32, v31 dst_sel:DWORD dst_unused:UNUSED_PAD src0_sel:WORD_1 src1_sel:DWORD
	v_fma_f16 v1, v32, v31, v1
	v_fma_f16 v0, v32, v0, -v2
	v_pack_b32_f16 v0, v1, v0
	ds_write_b32 v25, v0 offset:2352
.LBB0_3:
	s_or_b64 exec, exec, s[14:15]
	s_load_dwordx2 s[2:3], s[4:5], 0x20
	s_load_dwordx2 s[0:1], s[4:5], 0x8
	s_waitcnt lgkmcnt(0)
	s_barrier
	s_waitcnt lgkmcnt(0)
                                        ; implicit-def: $vgpr0
                                        ; implicit-def: $vgpr3
                                        ; implicit-def: $vgpr20
                                        ; implicit-def: $vgpr15
                                        ; implicit-def: $vgpr36
                                        ; implicit-def: $vgpr37
                                        ; implicit-def: $vgpr17
                                        ; implicit-def: $vgpr38
                                        ; implicit-def: $vgpr39
                                        ; implicit-def: $vgpr13
                                        ; implicit-def: $vgpr40
                                        ; implicit-def: $vgpr19
                                        ; implicit-def: $vgpr7
                                        ; implicit-def: $vgpr21
                                        ; implicit-def: $vgpr22
                                        ; implicit-def: $vgpr5
                                        ; implicit-def: $vgpr23
                                        ; implicit-def: $vgpr24
                                        ; implicit-def: $vgpr35
	s_and_saveexec_b64 s[4:5], vcc
	s_cbranch_execz .LBB0_5
; %bb.4:
	v_add_u32_e32 v9, 0x400, v25
	ds_read2_b32 v[0:1], v25 offset1:49
	ds_read2_b32 v[4:5], v25 offset0:98 offset1:147
	ds_read2_b32 v[6:7], v25 offset0:196 offset1:245
	;; [unrolled: 1-line block ×4, first 2 shown]
	v_add_u32_e32 v9, 0x600, v25
	ds_read2_b32 v[17:18], v9 offset0:106 offset1:155
	ds_read_b32 v13, v25 offset:2352
	s_waitcnt lgkmcnt(6)
	v_lshrrev_b32_e32 v35, 16, v1
	s_waitcnt lgkmcnt(5)
	v_lshrrev_b32_e32 v24, 16, v4
	v_lshrrev_b32_e32 v23, 16, v5
	s_waitcnt lgkmcnt(4)
	v_lshrrev_b32_e32 v22, 16, v6
	;; [unrolled: 3-line block ×6, first 2 shown]
.LBB0_5:
	s_or_b64 exec, exec, s[4:5]
	v_sub_f16_e32 v14, v35, v40
	v_add_f16_e32 v48, v13, v1
	s_movk_i32 s4, 0x388b
	v_mul_f16_e32 v41, 0xba95, v14
	v_sub_f16_e32 v27, v24, v39
	v_fma_f16 v9, v48, s4, v41
	s_mov_b32 s5, 0xb5ac
	v_add_f16_e32 v49, v18, v4
	v_mul_f16_e32 v42, 0xbb7b, v27
	v_add_f16_e32 v9, v9, v0
	v_fma_f16 v10, v49, s5, v42
	s_movk_i32 s8, 0x2fb7
	v_mul_f16_e32 v43, 0xbbf1, v14
	v_add_f16_e32 v9, v10, v9
	v_fma_f16 v10, v48, s8, v43
	s_mov_b32 s9, 0xbbc4
	v_mul_f16_e32 v44, 0xb3a8, v27
	v_sub_f16_e32 v28, v23, v38
	v_add_f16_e32 v10, v10, v0
	v_fma_f16 v11, v49, s9, v44
	v_add_f16_e32 v52, v17, v5
	v_mul_f16_e32 v45, 0xb3a8, v28
	v_add_f16_e32 v10, v11, v10
	v_fma_f16 v11, v52, s9, v45
	v_mul_f16_e32 v46, 0x3b7b, v28
	v_sub_f16_e32 v29, v22, v37
	v_add_f16_e32 v9, v11, v9
	v_fma_f16 v11, v52, s5, v46
	s_mov_b32 s10, 0xb9fd
	v_add_f16_e32 v54, v16, v6
	v_mul_f16_e32 v47, 0x394e, v29
	v_add_f16_e32 v10, v11, v10
	v_fma_f16 v11, v54, s10, v47
	s_movk_i32 s11, 0x3b15
	v_mul_f16_e32 v50, 0x3770, v29
	v_sub_f16_e32 v30, v21, v36
	v_add_f16_e32 v9, v11, v9
	v_fma_f16 v11, v54, s11, v50
	v_add_f16_e32 v56, v15, v7
	v_mul_f16_e32 v51, 0x3bf1, v30
	v_add_f16_e32 v10, v11, v10
	v_fma_f16 v11, v56, s8, v51
	v_mul_f16_e32 v53, 0xba95, v30
	v_sub_f16_e32 v122, v19, v20
	v_add_f16_e32 v9, v11, v9
	v_fma_f16 v11, v56, s4, v53
	v_add_f16_e32 v60, v3, v2
	v_mul_f16_e32 v55, 0x3770, v122
	v_add_f16_e32 v11, v11, v10
	v_fma_f16 v10, v60, s11, v55
	v_mul_f16_e32 v57, 0xb94e, v122
	v_add_f16_e32 v10, v10, v9
	v_fma_f16 v9, v60, s10, v57
	;; [unrolled: 3-line block ×16, first 2 shown]
	v_add_f16_e32 v31, v32, v31
	v_sub_f16_e32 v32, v1, v13
	v_add_f16_e32 v99, v40, v35
	v_mul_f16_e32 v61, 0xb770, v32
	v_sub_f16_e32 v34, v4, v18
	v_fma_f16 v33, v99, s11, -v61
	v_add_f16_e32 v94, v39, v24
	v_mul_f16_e32 v62, 0xba95, v34
	v_add_f16_sdwa v33, v33, v0 dst_sel:DWORD dst_unused:UNUSED_PAD src0_sel:DWORD src1_sel:WORD_1
	v_fma_f16 v68, v94, s4, -v62
	v_mul_f16_e32 v69, 0xba95, v32
	v_add_f16_e32 v33, v68, v33
	v_fma_f16 v68, v99, s4, -v69
	v_mul_f16_e32 v71, 0xbb7b, v34
	v_add_f16_sdwa v68, v68, v0 dst_sel:DWORD dst_unused:UNUSED_PAD src0_sel:DWORD src1_sel:WORD_1
	v_fma_f16 v72, v94, s5, -v71
	v_mul_f16_e32 v74, 0xbbf1, v32
	v_add_f16_e32 v73, v72, v68
	v_fma_f16 v68, v99, s8, -v74
	;; [unrolled: 6-line block ×3, first 2 shown]
	v_mul_f16_e32 v90, 0x394e, v34
	v_mul_f16_e32 v109, 0xb3a8, v14
	v_add_f16_sdwa v68, v68, v0 dst_sel:DWORD dst_unused:UNUSED_PAD src0_sel:DWORD src1_sel:WORD_1
	v_fma_f16 v72, v94, s10, -v90
	v_mul_f16_e32 v104, 0xb94e, v32
	v_fma_f16 v14, v48, s9, v109
	v_mul_f16_e32 v110, 0x3770, v27
	v_add_f16_e32 v78, v72, v68
	v_fma_f16 v68, v99, s10, -v104
	v_mul_f16_e32 v105, 0x3bf1, v34
	v_add_f16_e32 v14, v14, v0
	v_fma_f16 v27, v49, s11, v110
	v_mul_f16_e32 v114, 0xb3a8, v32
	v_add_f16_sdwa v68, v68, v0 dst_sel:DWORD dst_unused:UNUSED_PAD src0_sel:DWORD src1_sel:WORD_1
	v_fma_f16 v72, v94, s8, -v105
	v_add_f16_e32 v14, v27, v14
	v_fma_f16 v27, v99, s9, -v114
	v_mul_f16_e32 v115, 0x3770, v34
	v_add_f16_e32 v85, v72, v68
	v_add_f16_sdwa v27, v27, v0 dst_sel:DWORD dst_unused:UNUSED_PAD src0_sel:DWORD src1_sel:WORD_1
	v_fma_f16 v32, v94, s11, -v115
	v_mul_f16_e32 v68, 0xbbf1, v28
	v_add_f16_e32 v27, v32, v27
	v_fma_f16 v32, v52, s8, v68
	v_add_f16_e32 v31, v32, v31
	v_sub_f16_e32 v32, v5, v17
	v_add_f16_e32 v98, v38, v23
	v_mul_f16_e32 v72, 0xbbf1, v32
	v_fma_f16 v34, v98, s8, -v72
	v_mul_f16_e32 v77, 0xb3a8, v32
	v_add_f16_e32 v33, v34, v33
	v_fma_f16 v34, v98, s9, -v77
	v_mul_f16_e32 v87, 0x3b7b, v32
	v_add_f16_e32 v34, v34, v73
	;; [unrolled: 3-line block ×3, first 2 shown]
	v_fma_f16 v73, v98, s11, -v95
	v_mul_f16_e32 v108, 0xba95, v32
	v_mul_f16_e32 v113, 0xb94e, v28
	v_add_f16_e32 v78, v73, v78
	v_fma_f16 v73, v98, s4, -v108
	v_fma_f16 v28, v52, s10, v113
	v_mul_f16_e32 v118, 0xb94e, v32
	v_add_f16_e32 v85, v73, v85
	v_add_f16_e32 v14, v28, v14
	v_fma_f16 v28, v98, s10, -v118
	v_mul_f16_e32 v73, 0xbb7b, v29
	v_add_f16_e32 v27, v28, v27
	v_fma_f16 v28, v54, s5, v73
	v_add_f16_e32 v28, v28, v31
	v_sub_f16_e32 v31, v6, v16
	v_add_f16_e32 v100, v37, v22
	v_mul_f16_e32 v76, 0xbb7b, v31
	v_fma_f16 v32, v100, s5, -v76
	v_mul_f16_e32 v86, 0x394e, v31
	v_add_f16_e32 v32, v32, v33
	v_fma_f16 v33, v100, s10, -v86
	v_mul_f16_e32 v93, 0x3770, v31
	v_add_f16_e32 v33, v33, v34
	;; [unrolled: 3-line block ×3, first 2 shown]
	v_fma_f16 v88, v100, s8, -v101
	v_mul_f16_e32 v112, 0x33a8, v31
	v_mul_f16_e32 v117, 0x3a95, v29
	v_add_f16_e32 v88, v88, v78
	v_fma_f16 v78, v100, s9, -v112
	v_fma_f16 v29, v54, s4, v117
	v_mul_f16_e32 v121, 0x3a95, v31
	v_add_f16_e32 v91, v78, v85
	v_add_f16_e32 v14, v29, v14
	v_fma_f16 v29, v100, s4, -v121
	v_mul_f16_e32 v78, 0xb94e, v30
	v_add_f16_e32 v27, v29, v27
	v_fma_f16 v29, v56, s10, v78
	v_add_f16_e32 v28, v29, v28
	v_sub_f16_e32 v29, v7, v15
	v_add_f16_e32 v102, v36, v21
	v_mul_f16_e32 v85, 0xb94e, v29
	v_fma_f16 v31, v102, s10, -v85
	v_mul_f16_e32 v92, 0x3bf1, v29
	v_add_f16_e32 v31, v31, v32
	v_fma_f16 v32, v102, s8, -v92
	v_mul_f16_e32 v97, 0xba95, v29
	v_add_f16_e32 v32, v32, v33
	;; [unrolled: 3-line block ×5, first 2 shown]
	v_fma_f16 v29, v102, s5, -v123
	v_mul_f16_e32 v88, 0xb3a8, v122
	v_sub_f16_e32 v125, v2, v3
	v_mul_f16_e32 v120, 0xbb7b, v30
	v_add_f16_e32 v27, v29, v27
	v_fma_f16 v29, v60, s9, v88
	v_add_f16_e32 v106, v20, v19
	v_mul_f16_e32 v91, 0xb3a8, v125
	v_fma_f16 v30, v56, s5, v120
	v_add_f16_e32 v28, v29, v28
	v_fma_f16 v29, v106, s9, -v91
	v_mul_f16_e32 v96, 0x3770, v125
	v_mul_f16_e32 v103, 0xb94e, v125
	v_add_f16_e32 v14, v30, v14
	v_add_f16_e32 v29, v29, v31
	v_fma_f16 v30, v106, s11, -v96
	v_fma_f16 v31, v106, s10, -v103
	v_mul_f16_e32 v111, 0x3a95, v125
	v_mul_f16_e32 v119, 0xbb7b, v125
	v_add_f16_e32 v30, v30, v32
	v_add_f16_e32 v31, v31, v33
	v_fma_f16 v32, v106, s4, -v111
	v_fma_f16 v33, v106, s5, -v119
	v_add_f16_e32 v32, v32, v34
	v_add_f16_e32 v34, v33, v124
	v_mul_f16_e32 v124, 0x3bf1, v125
	v_fma_f16 v33, v106, s8, -v124
	v_mul_f16_e32 v122, 0x3bf1, v122
	v_add_f16_e32 v33, v33, v27
	v_fma_f16 v27, v60, s8, v122
	v_add_f16_e32 v14, v27, v14
	v_mul_lo_u16_e32 v27, 13, v26
	s_barrier
	s_and_saveexec_b64 s[4:5], vcc
	s_cbranch_execz .LBB0_7
; %bb.6:
	v_mul_f16_e32 v125, 0xbbc4, v99
	v_add_f16_e32 v114, v114, v125
	v_mul_f16_e32 v125, 0x3b15, v94
	v_add_f16_e32 v115, v115, v125
	v_add_f16_sdwa v114, v114, v0 dst_sel:DWORD dst_unused:UNUSED_PAD src0_sel:DWORD src1_sel:WORD_1
	v_add_f16_e32 v114, v115, v114
	v_mul_f16_e32 v115, 0xb9fd, v98
	v_add_f16_e32 v115, v118, v115
	v_add_f16_e32 v114, v115, v114
	v_mul_f16_e32 v115, 0x388b, v100
	v_add_f16_e32 v115, v121, v115
	;; [unrolled: 3-line block ×4, first 2 shown]
	v_add_f16_e32 v114, v115, v114
	v_mul_f16_e32 v115, 0xbbc4, v48
	v_sub_f16_e32 v109, v115, v109
	v_mul_f16_e32 v115, 0x3b15, v49
	v_sub_f16_e32 v110, v115, v110
	v_add_f16_e32 v109, v109, v0
	v_add_f16_e32 v109, v110, v109
	v_mul_f16_e32 v110, 0xb9fd, v52
	v_sub_f16_e32 v110, v110, v113
	v_add_f16_e32 v109, v110, v109
	v_mul_f16_e32 v110, 0x388b, v54
	v_mul_f16_e32 v118, 0x3b15, v99
	;; [unrolled: 1-line block ×4, first 2 shown]
	v_sub_f16_e32 v110, v110, v117
	v_mul_f16_e32 v117, 0xb5ac, v99
	v_mul_f16_e32 v99, 0xb9fd, v99
	v_add_f16_e32 v99, v104, v99
	v_mul_f16_e32 v104, 0x2fb7, v94
	v_add_f16_e32 v104, v105, v104
	v_add_f16_sdwa v99, v99, v0 dst_sel:DWORD dst_unused:UNUSED_PAD src0_sel:DWORD src1_sel:WORD_1
	v_add_f16_e32 v99, v104, v99
	v_mul_f16_e32 v104, 0x388b, v98
	v_add_f16_e32 v109, v110, v109
	v_mul_f16_e32 v110, 0xb5ac, v56
	v_add_f16_e32 v104, v108, v104
	v_sub_f16_e32 v110, v110, v120
	v_add_f16_e32 v99, v104, v99
	v_mul_f16_e32 v104, 0xbbc4, v100
	v_add_f16_e32 v109, v110, v109
	v_mul_f16_e32 v110, 0x2fb7, v60
	;; [unrolled: 2-line block ×3, first 2 shown]
	v_mul_f16_e32 v121, 0x388b, v48
	v_mul_f16_e32 v124, 0x2fb7, v48
	;; [unrolled: 1-line block ×4, first 2 shown]
	v_sub_f16_e32 v110, v110, v122
	v_add_f16_e32 v99, v104, v99
	v_mul_f16_e32 v104, 0x3b15, v102
	v_mul_f16_e32 v120, 0x388b, v49
	v_add_f16_e32 v109, v110, v109
	v_mul_f16_e32 v110, 0xb5ac, v49
	v_mul_f16_e32 v108, 0xbbc4, v49
	;; [unrolled: 3-line block ×3, first 2 shown]
	v_sub_f16_e32 v48, v48, v79
	v_sub_f16_e32 v49, v49, v80
	v_add_f16_e32 v48, v48, v0
	v_add_f16_e32 v48, v49, v48
	v_mul_f16_e32 v49, 0x388b, v52
	v_sub_f16_e32 v49, v49, v81
	v_add_f16_e32 v48, v49, v48
	v_mul_f16_e32 v49, 0xbbc4, v54
	v_sub_f16_e32 v49, v49, v82
	v_add_f16_e32 v48, v49, v48
	v_mul_f16_e32 v49, 0x3b15, v56
	v_sub_f16_e32 v49, v49, v83
	v_mul_f16_e32 v122, 0x388b, v94
	v_mul_f16_e32 v105, 0xb5ac, v94
	;; [unrolled: 1-line block ×4, first 2 shown]
	v_add_f16_e32 v48, v49, v48
	v_mul_f16_e32 v49, 0xb5ac, v60
	v_add_f16_e32 v89, v89, v117
	v_sub_f16_e32 v41, v121, v41
	v_add_f16_e32 v99, v104, v99
	v_mul_f16_e32 v104, 0xb5ac, v106
	v_mul_f16_e32 v79, 0xbbc4, v52
	v_sub_f16_e32 v49, v49, v84
	v_add_f16_e32 v90, v90, v94
	v_add_f16_sdwa v89, v89, v0 dst_sel:DWORD dst_unused:UNUSED_PAD src0_sel:DWORD src1_sel:WORD_1
	v_add_f16_e32 v41, v41, v0
	v_sub_f16_e32 v42, v110, v42
	v_add_f16_e32 v104, v119, v104
	v_mul_f16_e32 v84, 0xb5ac, v100
	v_add_f16_e32 v48, v49, v48
	v_mul_f16_e32 v49, 0xb9fd, v54
	v_mul_f16_e32 v117, 0xb9fd, v100
	v_add_f16_e32 v89, v90, v89
	v_mul_f16_e32 v90, 0x3b15, v100
	v_mul_f16_e32 v100, 0x2fb7, v100
	v_add_f16_e32 v41, v42, v41
	v_sub_f16_e32 v42, v79, v45
	v_add_f16_e32 v99, v104, v99
	v_mul_f16_e32 v104, 0x2fb7, v98
	v_mul_f16_e32 v80, 0xbbc4, v98
	;; [unrolled: 1-line block ×4, first 2 shown]
	v_add_f16_e32 v100, v101, v100
	v_mul_f16_e32 v101, 0x2fb7, v56
	v_add_f16_e32 v41, v42, v41
	v_sub_f16_e32 v42, v49, v47
	v_add_f16_e32 v95, v95, v98
	v_sub_f16_e32 v64, v116, v64
	v_mul_f16_e32 v116, 0x3b15, v60
	v_add_f16_e32 v41, v42, v41
	v_sub_f16_e32 v42, v101, v51
	v_add_f16_e32 v89, v95, v89
	v_add_f16_e32 v41, v42, v41
	v_sub_f16_e32 v42, v116, v55
	v_add_f16_e32 v89, v100, v89
	v_mul_f16_e32 v100, 0xbbc4, v102
	v_sub_f16_e32 v63, v113, v63
	v_sub_f16_e32 v43, v124, v43
	v_add_f16_e32 v41, v42, v41
	v_add_f16_e32 v42, v61, v118
	v_mul_f16_e32 v119, 0x2fb7, v52
	v_mul_f16_e32 v81, 0xb5ac, v52
	;; [unrolled: 1-line block ×3, first 2 shown]
	v_add_f16_e32 v100, v107, v100
	v_add_f16_e32 v63, v63, v0
	v_add_f16_e32 v43, v43, v0
	v_sub_f16_e32 v44, v108, v44
	v_add_f16_sdwa v42, v42, v0 dst_sel:DWORD dst_unused:UNUSED_PAD src0_sel:DWORD src1_sel:WORD_1
	v_add_f16_e32 v45, v62, v122
	v_mul_f16_e32 v83, 0xb5ac, v54
	v_mul_f16_e32 v94, 0x3b15, v54
	;; [unrolled: 1-line block ×3, first 2 shown]
	v_add_f16_e32 v89, v100, v89
	v_mul_f16_e32 v100, 0x388b, v106
	v_add_f16_e32 v63, v64, v63
	v_sub_f16_e32 v52, v52, v65
	v_add_f16_e32 v43, v44, v43
	v_sub_f16_e32 v44, v81, v46
	v_add_f16_e32 v42, v45, v42
	v_add_f16_e32 v45, v72, v104
	v_mul_f16_e32 v98, 0xb9fd, v56
	v_mul_f16_e32 v95, 0xb9fd, v102
	v_add_f16_e32 v100, v111, v100
	v_mul_f16_e32 v111, 0x388b, v56
	v_mul_f16_e32 v56, 0xbbc4, v56
	v_add_f16_e32 v52, v52, v63
	v_sub_f16_e32 v54, v54, v66
	v_add_f16_e32 v43, v44, v43
	v_sub_f16_e32 v44, v94, v50
	v_add_f16_e32 v42, v45, v42
	v_add_f16_e32 v45, v76, v84
	;; [unrolled: 1-line block ×3, first 2 shown]
	v_mul_f16_e32 v100, 0xbbc4, v60
	v_mul_f16_e32 v113, 0xbbc4, v106
	;; [unrolled: 1-line block ×4, first 2 shown]
	v_add_f16_e32 v52, v54, v52
	v_sub_f16_e32 v54, v56, v67
	v_add_f16_e32 v43, v44, v43
	v_sub_f16_e32 v44, v111, v53
	v_add_f16_e32 v42, v45, v42
	v_add_f16_e32 v45, v85, v95
	;; [unrolled: 1-line block ×3, first 2 shown]
	v_sub_f16_e32 v54, v60, v70
	v_add_f16_e32 v43, v44, v43
	v_sub_f16_e32 v44, v65, v57
	v_add_f16_e32 v42, v45, v42
	v_add_f16_e32 v45, v91, v113
	;; [unrolled: 1-line block ×7, first 2 shown]
	v_sub_f16_e32 v45, v125, v58
	v_add_f16_sdwa v54, v54, v0 dst_sel:DWORD dst_unused:UNUSED_PAD src0_sel:DWORD src1_sel:WORD_1
	v_add_f16_sdwa v44, v44, v0 dst_sel:DWORD dst_unused:UNUSED_PAD src0_sel:DWORD src1_sel:WORD_1
	v_add_f16_e32 v45, v45, v0
	v_add_f16_sdwa v35, v35, v0 dst_sel:DWORD dst_unused:UNUSED_PAD src0_sel:DWORD src1_sel:WORD_1
	v_add_f16_e32 v0, v1, v0
	v_add_f16_e32 v24, v24, v35
	;; [unrolled: 1-line block ×10, first 2 shown]
	v_mul_f16_e32 v107, 0x2fb7, v102
	v_add_f16_e32 v44, v46, v44
	v_add_f16_e32 v46, v86, v117
	;; [unrolled: 1-line block ×4, first 2 shown]
	v_mul_f16_e32 v64, 0x3b15, v106
	v_add_f16_e32 v44, v46, v44
	v_add_f16_e32 v46, v92, v107
	;; [unrolled: 1-line block ×9, first 2 shown]
	v_sub_f16_e32 v46, v120, v59
	v_add_f16_e32 v19, v36, v19
	v_add_f16_e32 v0, v15, v0
	;; [unrolled: 1-line block ×4, first 2 shown]
	v_sub_f16_e32 v46, v119, v68
	v_add_f16_e32 v19, v37, v19
	v_add_f16_e32 v0, v16, v0
	;; [unrolled: 1-line block ×5, first 2 shown]
	v_sub_f16_e32 v46, v83, v73
	v_add_f16_e32 v19, v38, v19
	v_add_f16_e32 v0, v17, v0
	v_mul_f16_e32 v102, 0x388b, v102
	v_add_f16_e32 v54, v56, v54
	v_add_f16_e32 v56, v93, v90
	v_add_f16_e32 v45, v46, v45
	v_sub_f16_e32 v46, v98, v78
	v_add_f16_e32 v19, v39, v19
	v_add_f16_e32 v0, v18, v0
	v_mul_f16_e32 v106, 0xb9fd, v106
	v_add_f16_e32 v54, v56, v54
	v_add_f16_e32 v56, v97, v102
	;; [unrolled: 1-line block ×3, first 2 shown]
	v_sub_f16_e32 v46, v100, v88
	v_add_f16_sdwa v19, v40, v19 dst_sel:WORD_1 dst_unused:UNUSED_PAD src0_sel:DWORD src1_sel:DWORD
	v_add_f16_e32 v0, v13, v0
	v_add_f16_e32 v54, v56, v54
	;; [unrolled: 1-line block ×4, first 2 shown]
	v_or_b32_e32 v0, v19, v0
	v_lshlrev_b32_e32 v1, 2, v27
	v_add_f16_e32 v54, v56, v54
	ds_write_b32 v1, v0
	v_pack_b32_f16 v0, v41, v44
	v_pack_b32_f16 v2, v45, v42
	ds_write2_b32 v1, v2, v0 offset0:1 offset1:2
	v_pack_b32_f16 v0, v52, v89
	v_pack_b32_f16 v2, v43, v54
	ds_write2_b32 v1, v2, v0 offset0:3 offset1:4
	v_pack_b32_f16 v0, v109, v114
	v_pack_b32_f16 v2, v48, v99
	s_mov_b32 s8, 0x5040100
	ds_write2_b32 v1, v2, v0 offset0:5 offset1:6
	v_perm_b32 v0, v34, v11, s8
	v_perm_b32 v2, v33, v14, s8
	ds_write2_b32 v1, v2, v0 offset0:7 offset1:8
	v_perm_b32 v0, v31, v9, s8
	v_perm_b32 v2, v32, v12, s8
	ds_write2_b32 v1, v2, v0 offset0:9 offset1:10
	v_perm_b32 v0, v29, v28, s8
	v_perm_b32 v2, v30, v10, s8
	ds_write2_b32 v1, v2, v0 offset0:11 offset1:12
.LBB0_7:
	s_or_b64 exec, exec, s[4:5]
	s_load_dwordx4 s[8:11], s[2:3], 0x0
	s_movk_i32 s2, 0x4f
	v_mul_lo_u16_sdwa v0, v26, s2 dst_sel:DWORD dst_unused:UNUSED_PAD src0_sel:BYTE_0 src1_sel:DWORD
	v_lshrrev_b16_e32 v13, 10, v0
	v_mul_lo_u16_e32 v0, 13, v13
	v_sub_u16_e32 v0, v26, v0
	v_and_b32_e32 v19, 0xff, v0
	v_mul_u32_u24_e32 v0, 6, v19
	v_lshlrev_b32_e32 v4, 2, v0
	s_waitcnt lgkmcnt(0)
	s_barrier
	global_load_dwordx4 v[0:3], v4, s[0:1]
	global_load_dwordx2 v[15:16], v4, s[0:1] offset:16
	v_add_u32_e32 v43, 0x200, v25
	v_add_u32_e32 v42, 0x400, v25
	ds_read2_b32 v[4:5], v25 offset1:91
	ds_read_b32 v20, v25 offset:2184
	ds_read2_b32 v[6:7], v43 offset0:54 offset1:145
	ds_read2_b32 v[17:18], v42 offset0:108 offset1:199
	s_movk_i32 s3, 0x2b26
	s_waitcnt lgkmcnt(3)
	v_lshrrev_b32_e32 v21, 16, v5
	s_waitcnt lgkmcnt(2)
	v_lshrrev_b32_e32 v22, 16, v20
	s_waitcnt lgkmcnt(1)
	v_lshrrev_b32_e32 v23, 16, v6
	s_waitcnt lgkmcnt(0)
	v_lshrrev_b32_e32 v36, 16, v18
	v_lshrrev_b32_e32 v24, 16, v7
	v_lshrrev_b32_e32 v35, 16, v17
	s_mov_b32 s4, 0xbcab
	s_movk_i32 s5, 0x39e0
	s_mov_b32 s14, 0xb9e0
	s_movk_i32 s15, 0x3574
	s_movk_i32 s2, 0x3b00
	s_mov_b32 s16, 0xb574
	s_movk_i32 s17, 0x370e
	v_mul_u32_u24_e32 v13, 0x5b, v13
	s_waitcnt vmcnt(0)
	s_barrier
	v_mul_f16_sdwa v37, v21, v0 dst_sel:DWORD dst_unused:UNUSED_PAD src0_sel:DWORD src1_sel:WORD_1
	v_mul_f16_sdwa v38, v5, v0 dst_sel:DWORD dst_unused:UNUSED_PAD src0_sel:DWORD src1_sel:WORD_1
	;; [unrolled: 1-line block ×12, first 2 shown]
	v_fma_f16 v5, v5, v0, -v37
	v_fma_f16 v21, v21, v0, v38
	v_fma_f16 v6, v6, v1, -v39
	v_fma_f16 v23, v23, v1, v40
	;; [unrolled: 2-line block ×6, first 2 shown]
	v_add_f16_e32 v37, v5, v20
	v_add_f16_e32 v38, v21, v22
	v_sub_f16_e32 v5, v5, v20
	v_sub_f16_e32 v20, v21, v22
	v_add_f16_e32 v21, v6, v18
	v_add_f16_e32 v22, v23, v36
	v_sub_f16_e32 v6, v6, v18
	v_sub_f16_e32 v18, v23, v36
	;; [unrolled: 4-line block ×4, first 2 shown]
	v_sub_f16_e32 v37, v37, v23
	v_sub_f16_e32 v38, v38, v36
	v_sub_f16_e32 v21, v23, v21
	v_sub_f16_e32 v22, v36, v22
	v_add_f16_e32 v41, v7, v6
	v_add_f16_e32 v44, v17, v18
	v_sub_f16_e32 v45, v7, v6
	v_sub_f16_e32 v46, v17, v18
	v_add_f16_e32 v23, v23, v24
	v_add_f16_e32 v24, v36, v35
	v_sub_f16_e32 v7, v5, v7
	v_sub_f16_e32 v17, v20, v17
	;; [unrolled: 1-line block ×4, first 2 shown]
	v_add_f16_e32 v5, v41, v5
	v_add_f16_e32 v20, v44, v20
	v_mul_f16_e32 v35, 0x3a52, v37
	v_mul_f16_e32 v36, 0x3a52, v38
	;; [unrolled: 1-line block ×6, first 2 shown]
	v_add_f16_e32 v47, v23, v4
	v_add_f16_sdwa v4, v24, v4 dst_sel:DWORD dst_unused:UNUSED_PAD src0_sel:DWORD src1_sel:WORD_1
	v_mul_f16_e32 v45, 0x3b00, v6
	v_mul_f16_e32 v46, 0x3b00, v18
	v_lshlrev_b32_e32 v48, 16, v4
	v_fma_f16 v23, v23, s4, v47
	v_fma_f16 v4, v24, s4, v4
	;; [unrolled: 1-line block ×4, first 2 shown]
	v_fma_f16 v24, v39, s5, -v37
	v_fma_f16 v37, v40, s5, -v38
	v_fma_f16 v35, v39, s14, -v35
	v_fma_f16 v36, v40, s14, -v36
	v_fma_f16 v38, v7, s15, v41
	v_fma_f16 v39, v17, s15, v44
	v_fma_f16 v6, v6, s2, -v41
	v_fma_f16 v18, v18, s2, -v44
	;; [unrolled: 1-line block ×4, first 2 shown]
	v_add_f16_e32 v21, v21, v23
	v_add_f16_e32 v22, v22, v4
	;; [unrolled: 1-line block ×6, first 2 shown]
	v_fma_f16 v35, v5, s17, v38
	v_fma_f16 v36, v20, s17, v39
	;; [unrolled: 1-line block ×6, first 2 shown]
	v_add_f16_e32 v17, v36, v21
	v_sub_f16_e32 v20, v22, v35
	v_sub_f16_e32 v39, v4, v5
	v_add_f16_e32 v4, v5, v4
	v_sub_f16_e32 v5, v21, v36
	v_add_f16_e32 v21, v35, v22
	v_add_lshl_u32 v35, v13, v19, 2
	v_pack_b32_f16 v13, v17, v20
	v_mad_u64_u32 v[19:20], s[0:1], v26, 24, s[0:1]
	v_add_f16_e32 v38, v7, v23
	v_sub_f16_e32 v40, v24, v18
	v_add_f16_e32 v41, v6, v37
	v_add_f16_e32 v18, v18, v24
	v_sub_f16_e32 v6, v37, v6
	v_sub_f16_e32 v7, v23, v7
	v_or_b32_e32 v48, v48, v47
	v_pack_b32_f16 v6, v18, v6
	v_pack_b32_f16 v4, v7, v4
	ds_write2_b32 v35, v48, v13 offset1:13
	v_pack_b32_f16 v13, v38, v39
	v_pack_b32_f16 v17, v40, v41
	ds_write2_b32 v35, v6, v4 offset0:52 offset1:65
	v_pack_b32_f16 v4, v5, v21
	ds_write2_b32 v35, v13, v17 offset0:26 offset1:39
	ds_write_b32 v35, v4 offset:312
	s_waitcnt lgkmcnt(0)
	s_barrier
	global_load_dwordx4 v[4:7], v[19:20], off offset:312
	global_load_dwordx2 v[17:18], v[19:20], off offset:328
	ds_read2_b32 v[19:20], v25 offset1:91
	ds_read2_b32 v[21:22], v43 offset0:54 offset1:145
	ds_read2_b32 v[23:24], v42 offset0:108 offset1:199
	ds_read_b32 v13, v25 offset:2184
	s_waitcnt lgkmcnt(3)
	v_lshrrev_b32_e32 v36, 16, v20
	s_waitcnt lgkmcnt(2)
	v_lshrrev_b32_e32 v38, 16, v22
	s_waitcnt lgkmcnt(1)
	v_lshrrev_b32_e32 v39, 16, v23
	v_lshrrev_b32_e32 v40, 16, v24
	s_waitcnt lgkmcnt(0)
	v_lshrrev_b32_e32 v41, 16, v13
	v_lshrrev_b32_e32 v37, 16, v21
	s_waitcnt vmcnt(1)
	v_mul_f16_sdwa v44, v36, v4 dst_sel:DWORD dst_unused:UNUSED_PAD src0_sel:DWORD src1_sel:WORD_1
	v_mul_f16_sdwa v45, v20, v4 dst_sel:DWORD dst_unused:UNUSED_PAD src0_sel:DWORD src1_sel:WORD_1
	v_fma_f16 v20, v20, v4, -v44
	v_mul_f16_sdwa v44, v38, v6 dst_sel:DWORD dst_unused:UNUSED_PAD src0_sel:DWORD src1_sel:WORD_1
	v_fma_f16 v44, v22, v6, -v44
	v_mul_f16_sdwa v22, v22, v6 dst_sel:DWORD dst_unused:UNUSED_PAD src0_sel:DWORD src1_sel:WORD_1
	v_fma_f16 v22, v38, v6, v22
	v_mul_f16_sdwa v38, v39, v7 dst_sel:DWORD dst_unused:UNUSED_PAD src0_sel:DWORD src1_sel:WORD_1
	v_fma_f16 v38, v23, v7, -v38
	v_mul_f16_sdwa v23, v23, v7 dst_sel:DWORD dst_unused:UNUSED_PAD src0_sel:DWORD src1_sel:WORD_1
	v_fma_f16 v23, v39, v7, v23
	s_waitcnt vmcnt(0)
	v_mul_f16_sdwa v39, v40, v17 dst_sel:DWORD dst_unused:UNUSED_PAD src0_sel:DWORD src1_sel:WORD_1
	v_fma_f16 v39, v24, v17, -v39
	v_mul_f16_sdwa v24, v24, v17 dst_sel:DWORD dst_unused:UNUSED_PAD src0_sel:DWORD src1_sel:WORD_1
	v_fma_f16 v24, v40, v17, v24
	v_mul_f16_sdwa v40, v41, v18 dst_sel:DWORD dst_unused:UNUSED_PAD src0_sel:DWORD src1_sel:WORD_1
	v_mul_f16_sdwa v46, v37, v5 dst_sel:DWORD dst_unused:UNUSED_PAD src0_sel:DWORD src1_sel:WORD_1
	;; [unrolled: 1-line block ×3, first 2 shown]
	v_fma_f16 v40, v13, v18, -v40
	v_mul_f16_sdwa v13, v13, v18 dst_sel:DWORD dst_unused:UNUSED_PAD src0_sel:DWORD src1_sel:WORD_1
	v_fma_f16 v36, v36, v4, v45
	v_fma_f16 v21, v21, v5, -v46
	v_fma_f16 v37, v37, v5, v47
	v_fma_f16 v13, v41, v18, v13
	v_add_f16_e32 v41, v20, v40
	v_add_f16_e32 v45, v36, v13
	v_sub_f16_e32 v20, v20, v40
	v_sub_f16_e32 v13, v36, v13
	v_add_f16_e32 v36, v21, v39
	v_add_f16_e32 v40, v37, v24
	v_sub_f16_e32 v21, v21, v39
	v_sub_f16_e32 v24, v37, v24
	;; [unrolled: 4-line block ×4, first 2 shown]
	v_sub_f16_e32 v36, v37, v36
	v_add_f16_e32 v23, v37, v23
	v_add_f16_e32 v37, v39, v44
	v_sub_f16_e32 v47, v40, v45
	v_sub_f16_e32 v45, v45, v39
	;; [unrolled: 1-line block ×3, first 2 shown]
	v_add_f16_e32 v48, v38, v21
	v_add_f16_e32 v49, v22, v24
	v_sub_f16_e32 v50, v38, v21
	v_sub_f16_e32 v51, v22, v24
	v_add_f16_sdwa v44, v37, v19 dst_sel:DWORD dst_unused:UNUSED_PAD src0_sel:DWORD src1_sel:WORD_1
	v_sub_f16_e32 v38, v20, v38
	v_sub_f16_e32 v22, v13, v22
	;; [unrolled: 1-line block ×4, first 2 shown]
	v_add_f16_e32 v20, v48, v20
	v_add_f16_e32 v13, v49, v13
	v_add_f16_e32 v39, v23, v19
	v_lshlrev_b32_e32 v19, 16, v44
	v_mul_f16_e32 v41, 0x3a52, v41
	v_mul_f16_e32 v45, 0x3a52, v45
	;; [unrolled: 1-line block ×6, first 2 shown]
	v_or_b32_e32 v19, v19, v39
	v_mul_f16_e32 v52, 0x3b00, v21
	v_mul_f16_e32 v53, 0x3b00, v24
	v_fma_f16 v23, v23, s4, v39
	v_fma_f16 v37, v37, s4, v44
	;; [unrolled: 1-line block ×4, first 2 shown]
	v_fma_f16 v40, v46, s5, -v48
	v_fma_f16 v44, v47, s5, -v49
	;; [unrolled: 1-line block ×4, first 2 shown]
	v_fma_f16 v46, v38, s15, v50
	v_fma_f16 v47, v22, s15, v51
	v_fma_f16 v21, v21, s2, -v50
	v_fma_f16 v24, v24, s2, -v51
	;; [unrolled: 1-line block ×4, first 2 shown]
	v_add_f16_e32 v48, v36, v23
	v_add_f16_e32 v49, v39, v37
	;; [unrolled: 1-line block ×5, first 2 shown]
	v_fma_f16 v45, v20, s17, v46
	v_fma_f16 v46, v13, s17, v47
	v_add_f16_e32 v41, v41, v23
	v_fma_f16 v47, v20, s17, v21
	v_fma_f16 v23, v13, s17, v24
	;; [unrolled: 1-line block ×4, first 2 shown]
	v_add_f16_e32 v20, v46, v48
	v_sub_f16_e32 v36, v49, v45
	v_add_f16_e32 v21, v13, v41
	v_sub_f16_e32 v37, v44, v50
	v_sub_f16_e32 v22, v39, v23
	v_add_f16_e32 v38, v47, v40
	v_add_f16_e32 v23, v23, v39
	v_sub_f16_e32 v39, v40, v47
	v_add_f16_e32 v40, v50, v44
	v_pack_b32_f16 v44, v20, v36
	v_sub_f16_e32 v24, v41, v13
	v_add_f16_e32 v41, v45, v49
	ds_write2_b32 v25, v19, v44 offset1:91
	v_pack_b32_f16 v44, v21, v37
	v_pack_b32_f16 v45, v22, v38
	v_sub_f16_e32 v13, v48, v46
	ds_write2_b32 v43, v44, v45 offset0:54 offset1:145
	v_pack_b32_f16 v43, v23, v39
	v_pack_b32_f16 v44, v24, v40
	ds_write2_b32 v42, v43, v44 offset0:108 offset1:199
	v_pack_b32_f16 v43, v13, v41
	ds_write_b32 v25, v43 offset:2184
	s_waitcnt lgkmcnt(0)
	s_barrier
	s_and_saveexec_b64 s[0:1], vcc
	s_cbranch_execz .LBB0_9
; %bb.8:
	global_load_dword v45, v25, s[6:7] offset:2548
	s_add_u32 s2, s6, 0x9f4
	s_addc_u32 s3, s7, 0
	global_load_dword v46, v25, s[2:3] offset:196
	global_load_dword v53, v25, s[2:3] offset:392
	;; [unrolled: 1-line block ×12, first 2 shown]
	ds_read2_b32 v[43:44], v25 offset1:49
	v_add_u32_e32 v63, 0x600, v25
	s_waitcnt lgkmcnt(0)
	v_lshrrev_b32_e32 v47, 16, v43
	v_lshrrev_b32_e32 v48, 16, v44
	s_waitcnt vmcnt(12)
	v_mul_f16_sdwa v49, v47, v45 dst_sel:DWORD dst_unused:UNUSED_PAD src0_sel:DWORD src1_sel:WORD_1
	v_mul_f16_sdwa v50, v43, v45 dst_sel:DWORD dst_unused:UNUSED_PAD src0_sel:DWORD src1_sel:WORD_1
	v_fma_f16 v43, v43, v45, -v49
	v_fma_f16 v45, v47, v45, v50
	v_pack_b32_f16 v43, v43, v45
	s_waitcnt vmcnt(11)
	v_mul_f16_sdwa v45, v48, v46 dst_sel:DWORD dst_unused:UNUSED_PAD src0_sel:DWORD src1_sel:WORD_1
	v_mul_f16_sdwa v47, v44, v46 dst_sel:DWORD dst_unused:UNUSED_PAD src0_sel:DWORD src1_sel:WORD_1
	v_fma_f16 v44, v44, v46, -v45
	v_fma_f16 v45, v48, v46, v47
	v_pack_b32_f16 v44, v44, v45
	ds_write2_b32 v25, v43, v44 offset1:49
	ds_read2_b32 v[43:44], v25 offset0:98 offset1:147
	ds_read2_b32 v[45:46], v25 offset0:196 offset1:245
	;; [unrolled: 1-line block ×5, first 2 shown]
	ds_read_b32 v65, v25 offset:2352
	s_waitcnt lgkmcnt(5)
	v_lshrrev_b32_e32 v66, 16, v43
	s_waitcnt vmcnt(10)
	v_mul_f16_sdwa v67, v43, v53 dst_sel:DWORD dst_unused:UNUSED_PAD src0_sel:DWORD src1_sel:WORD_1
	v_lshrrev_b32_e32 v68, 16, v44
	s_waitcnt vmcnt(9)
	v_mul_f16_sdwa v69, v44, v54 dst_sel:DWORD dst_unused:UNUSED_PAD src0_sel:DWORD src1_sel:WORD_1
	s_waitcnt lgkmcnt(4)
	v_lshrrev_b32_e32 v70, 16, v45
	s_waitcnt vmcnt(8)
	v_mul_f16_sdwa v71, v45, v55 dst_sel:DWORD dst_unused:UNUSED_PAD src0_sel:DWORD src1_sel:WORD_1
	v_lshrrev_b32_e32 v72, 16, v46
	s_waitcnt vmcnt(7)
	v_mul_f16_sdwa v73, v46, v56 dst_sel:DWORD dst_unused:UNUSED_PAD src0_sel:DWORD src1_sel:WORD_1
	;; [unrolled: 7-line block ×3, first 2 shown]
	s_waitcnt lgkmcnt(2)
	v_lshrrev_b32_e32 v78, 16, v49
	s_waitcnt vmcnt(4)
	v_mul_f16_sdwa v79, v49, v59 dst_sel:DWORD dst_unused:UNUSED_PAD src0_sel:DWORD src1_sel:WORD_1
	v_lshrrev_b32_e32 v80, 16, v50
	v_mul_f16_sdwa v85, v66, v53 dst_sel:DWORD dst_unused:UNUSED_PAD src0_sel:DWORD src1_sel:WORD_1
	v_fma_f16 v66, v66, v53, v67
	v_mul_f16_sdwa v67, v68, v54 dst_sel:DWORD dst_unused:UNUSED_PAD src0_sel:DWORD src1_sel:WORD_1
	s_waitcnt vmcnt(3)
	v_mul_f16_sdwa v81, v50, v60 dst_sel:DWORD dst_unused:UNUSED_PAD src0_sel:DWORD src1_sel:WORD_1
	v_fma_f16 v68, v68, v54, v69
	v_mul_f16_sdwa v69, v70, v55 dst_sel:DWORD dst_unused:UNUSED_PAD src0_sel:DWORD src1_sel:WORD_1
	v_fma_f16 v70, v70, v55, v71
	;; [unrolled: 2-line block ×6, first 2 shown]
	v_mul_f16_sdwa v79, v80, v60 dst_sel:DWORD dst_unused:UNUSED_PAD src0_sel:DWORD src1_sel:WORD_1
	v_fma_f16 v43, v43, v53, -v85
	v_fma_f16 v44, v44, v54, -v67
	s_waitcnt lgkmcnt(1)
	v_lshrrev_b32_e32 v82, 16, v51
	s_waitcnt vmcnt(2)
	v_mul_f16_sdwa v83, v51, v61 dst_sel:DWORD dst_unused:UNUSED_PAD src0_sel:DWORD src1_sel:WORD_1
	v_lshrrev_b32_e32 v84, 16, v52
	v_fma_f16 v80, v80, v60, v81
	v_fma_f16 v45, v45, v55, -v69
	v_fma_f16 v46, v46, v56, -v71
	v_fma_f16 v47, v47, v57, -v73
	v_fma_f16 v48, v48, v58, -v75
	v_fma_f16 v49, v49, v59, -v77
	v_fma_f16 v50, v50, v60, -v79
	v_pack_b32_f16 v43, v43, v66
	v_pack_b32_f16 v44, v44, v68
	v_mul_f16_sdwa v81, v82, v61 dst_sel:DWORD dst_unused:UNUSED_PAD src0_sel:DWORD src1_sel:WORD_1
	v_fma_f16 v82, v82, v61, v83
	s_waitcnt vmcnt(1)
	v_mul_f16_sdwa v83, v84, v62 dst_sel:DWORD dst_unused:UNUSED_PAD src0_sel:DWORD src1_sel:WORD_1
	v_pack_b32_f16 v45, v45, v70
	v_pack_b32_f16 v46, v46, v72
	;; [unrolled: 1-line block ×6, first 2 shown]
	ds_write2_b32 v25, v43, v44 offset0:98 offset1:147
	ds_write2_b32 v25, v45, v46 offset0:196 offset1:245
	;; [unrolled: 1-line block ×4, first 2 shown]
	v_mul_f16_sdwa v43, v52, v62 dst_sel:DWORD dst_unused:UNUSED_PAD src0_sel:DWORD src1_sel:WORD_1
	v_fma_f16 v51, v51, v61, -v81
	v_fma_f16 v42, v52, v62, -v83
	v_fma_f16 v43, v84, v62, v43
	v_pack_b32_f16 v51, v51, v82
	v_pack_b32_f16 v42, v42, v43
	ds_write2_b32 v63, v51, v42 offset0:106 offset1:155
	s_waitcnt lgkmcnt(5)
	v_lshrrev_b32_e32 v42, 16, v65
	s_waitcnt vmcnt(0)
	v_mul_f16_sdwa v43, v42, v64 dst_sel:DWORD dst_unused:UNUSED_PAD src0_sel:DWORD src1_sel:WORD_1
	v_mul_f16_sdwa v44, v65, v64 dst_sel:DWORD dst_unused:UNUSED_PAD src0_sel:DWORD src1_sel:WORD_1
	v_fma_f16 v43, v65, v64, -v43
	v_fma_f16 v42, v42, v64, v44
	v_pack_b32_f16 v42, v43, v42
	ds_write_b32 v25, v42 offset:2352
.LBB0_9:
	s_or_b64 exec, exec, s[0:1]
	s_waitcnt lgkmcnt(0)
	s_barrier
	s_and_saveexec_b64 s[0:1], vcc
	s_cbranch_execz .LBB0_11
; %bb.10:
	v_add_u32_e32 v9, 0x400, v25
	ds_read2_b32 v[19:20], v25 offset1:49
	ds_read2_b32 v[21:22], v25 offset0:98 offset1:147
	ds_read2_b32 v[23:24], v25 offset0:196 offset1:245
	;; [unrolled: 1-line block ×4, first 2 shown]
	v_add_u32_e32 v9, 0x600, v25
	ds_read2_b32 v[9:10], v9 offset0:106 offset1:155
	ds_read_b32 v28, v25 offset:2352
	s_waitcnt lgkmcnt(6)
	v_lshrrev_b32_e32 v36, 16, v20
	s_waitcnt lgkmcnt(5)
	v_lshrrev_b32_e32 v37, 16, v21
	v_lshrrev_b32_e32 v38, 16, v22
	s_waitcnt lgkmcnt(4)
	v_lshrrev_b32_e32 v39, 16, v23
	;; [unrolled: 3-line block ×6, first 2 shown]
.LBB0_11:
	s_or_b64 exec, exec, s[0:1]
	s_barrier
	s_and_saveexec_b64 s[0:1], vcc
	s_cbranch_execz .LBB0_13
; %bb.12:
	v_add_f16_e32 v42, v29, v36
	v_mul_f16_e32 v43, 0xbbc4, v42
	v_sub_f16_e32 v44, v20, v28
	s_movk_i32 s23, 0x33a8
	v_add_f16_e32 v46, v30, v37
	v_fma_f16 v45, v44, s23, v43
	v_mul_f16_e32 v47, 0x3b15, v46
	v_sub_f16_e32 v48, v21, v10
	s_mov_b32 s14, 0xb770
	v_add_f16_sdwa v45, v45, v19 dst_sel:DWORD dst_unused:UNUSED_PAD src0_sel:DWORD src1_sel:WORD_1
	v_fma_f16 v49, v48, s14, v47
	v_add_f16_e32 v45, v49, v45
	v_add_f16_e32 v49, v31, v38
	v_mul_f16_e32 v50, 0xb9fd, v49
	v_sub_f16_e32 v51, v22, v9
	s_movk_i32 s20, 0x394e
	v_fma_f16 v52, v51, s20, v50
	v_add_f16_e32 v45, v52, v45
	v_add_f16_e32 v52, v32, v39
	v_mul_f16_e32 v53, 0x388b, v52
	v_sub_f16_e32 v54, v23, v12
	s_mov_b32 s17, 0xba95
	v_fma_f16 v55, v54, s17, v53
	v_add_f16_e32 v45, v55, v45
	v_add_f16_e32 v55, v34, v40
	v_mul_f16_e32 v56, 0xb5ac, v55
	v_sub_f16_e32 v57, v24, v11
	s_movk_i32 s24, 0x3b7b
	v_fma_f16 v58, v57, s24, v56
	v_add_f16_e32 v45, v58, v45
	v_add_f16_e32 v58, v33, v41
	v_mul_f16_e32 v59, 0x2fb7, v58
	v_sub_f16_e32 v60, v13, v14
	s_mov_b32 s19, 0xbbf1
	v_fma_f16 v61, v60, s19, v59
	v_sub_f16_e32 v62, v36, v29
	s_mov_b32 s2, 0xbbc4
	v_add_f16_e32 v45, v61, v45
	v_add_f16_e32 v61, v28, v20
	v_mul_f16_e32 v63, 0xb3a8, v62
	v_sub_f16_e32 v66, v37, v30
	s_movk_i32 s4, 0x3b15
	v_fma_f16 v64, v61, s2, v63
	v_add_f16_e32 v65, v10, v21
	v_mul_f16_e32 v67, 0x3770, v66
	v_add_f16_e32 v64, v64, v19
	v_fma_f16 v68, v65, s4, v67
	v_sub_f16_e32 v69, v38, v31
	s_mov_b32 s3, 0xb9fd
	v_add_f16_e32 v64, v68, v64
	v_add_f16_e32 v68, v9, v22
	v_mul_f16_e32 v70, 0xb94e, v69
	v_fma_f16 v71, v68, s3, v70
	v_sub_f16_e32 v72, v39, v32
	s_movk_i32 s5, 0x388b
	v_add_f16_e32 v64, v71, v64
	v_add_f16_e32 v71, v12, v23
	v_mul_f16_e32 v73, 0x3a95, v72
	v_fma_f16 v74, v71, s5, v73
	v_sub_f16_e32 v75, v40, v34
	s_mov_b32 s15, 0xb5ac
	v_add_f16_e32 v64, v74, v64
	v_add_f16_e32 v74, v11, v24
	v_mul_f16_e32 v76, 0xbb7b, v75
	v_fma_f16 v77, v74, s15, v76
	v_sub_f16_e32 v78, v41, v33
	s_movk_i32 s16, 0x2fb7
	v_add_f16_e32 v64, v77, v64
	v_add_f16_e32 v77, v14, v13
	v_mul_f16_e32 v79, 0x3bf1, v78
	v_fma_f16 v80, v77, s16, v79
	v_add_f16_e32 v64, v80, v64
	v_mul_f16_e32 v80, 0xb9fd, v42
	v_fma_f16 v81, v44, s20, v80
	v_mul_f16_e32 v82, 0x2fb7, v46
	v_add_f16_sdwa v81, v81, v19 dst_sel:DWORD dst_unused:UNUSED_PAD src0_sel:DWORD src1_sel:WORD_1
	v_fma_f16 v83, v48, s19, v82
	s_movk_i32 s26, 0x3a95
	v_add_f16_e32 v81, v83, v81
	v_mul_f16_e32 v83, 0x388b, v49
	v_fma_f16 v84, v51, s26, v83
	s_mov_b32 s18, 0xb3a8
	v_add_f16_e32 v81, v84, v81
	v_mul_f16_e32 v84, 0xbbc4, v52
	v_fma_f16 v85, v54, s18, v84
	v_add_f16_e32 v81, v85, v81
	v_mul_f16_e32 v85, 0x3b15, v55
	v_fma_f16 v86, v57, s14, v85
	v_add_f16_e32 v81, v86, v81
	v_mul_f16_e32 v86, 0xb5ac, v58
	v_fma_f16 v87, v60, s24, v86
	v_add_f16_e32 v81, v87, v81
	v_mul_f16_e32 v87, 0xb94e, v62
	v_fma_f16 v88, v61, s3, v87
	v_mul_f16_e32 v89, 0x3bf1, v66
	v_add_f16_e32 v88, v88, v19
	v_fma_f16 v90, v65, s16, v89
	v_add_f16_e32 v88, v90, v88
	v_mul_f16_e32 v90, 0xba95, v69
	v_fma_f16 v91, v68, s5, v90
	v_add_f16_e32 v88, v91, v88
	v_mul_f16_e32 v91, 0x33a8, v72
	;; [unrolled: 3-line block ×5, first 2 shown]
	s_mov_b32 s21, 0xb94e
	v_fma_f16 v95, v44, s24, v94
	v_mul_f16_e32 v96, 0xb9fd, v46
	v_add_f16_sdwa v95, v95, v19 dst_sel:DWORD dst_unused:UNUSED_PAD src0_sel:DWORD src1_sel:WORD_1
	v_fma_f16 v97, v48, s21, v96
	v_add_f16_e32 v95, v97, v95
	v_mul_f16_e32 v97, 0x3b15, v49
	v_fma_f16 v98, v51, s14, v97
	s_movk_i32 s25, 0x3bf1
	v_add_f16_e32 v95, v98, v95
	v_mul_f16_e32 v98, 0x2fb7, v52
	v_fma_f16 v99, v54, s25, v98
	v_add_f16_e32 v95, v99, v95
	v_mul_f16_e32 v99, 0xbbc4, v55
	v_fma_f16 v100, v57, s18, v99
	;; [unrolled: 3-line block ×4, first 2 shown]
	v_mul_f16_e32 v103, 0x394e, v66
	v_add_f16_e32 v102, v102, v19
	v_fma_f16 v104, v65, s3, v103
	v_add_f16_e32 v102, v104, v102
	v_mul_f16_e32 v104, 0x3770, v69
	v_fma_f16 v105, v68, s4, v104
	v_add_f16_e32 v102, v105, v102
	v_mul_f16_e32 v105, 0xbbf1, v72
	;; [unrolled: 3-line block ×3, first 2 shown]
	s_movk_i32 s27, 0x3770
	v_fma_f16 v43, v44, s18, v43
	v_fma_f16 v107, v74, s2, v106
	v_add_f16_sdwa v43, v43, v19 dst_sel:DWORD dst_unused:UNUSED_PAD src0_sel:DWORD src1_sel:WORD_1
	v_fma_f16 v47, v48, s27, v47
	v_add_f16_e32 v102, v107, v102
	v_mul_f16_e32 v107, 0x3a95, v78
	v_add_f16_e32 v43, v47, v43
	v_fma_f16 v47, v51, s21, v50
	s_mov_b32 s22, 0xbb7b
	v_fma_f16 v108, v77, s5, v107
	v_add_f16_e32 v43, v47, v43
	v_fma_f16 v47, v54, s26, v53
	v_add_f16_e32 v102, v108, v102
	v_mul_f16_e32 v108, 0x2fb7, v42
	v_add_f16_e32 v43, v47, v43
	v_fma_f16 v47, v57, s22, v56
	v_fma_f16 v109, v44, s25, v108
	v_mul_f16_e32 v110, 0xbbc4, v46
	v_add_f16_e32 v43, v47, v43
	v_fma_f16 v47, v60, s25, v59
	v_add_f16_sdwa v109, v109, v19 dst_sel:DWORD dst_unused:UNUSED_PAD src0_sel:DWORD src1_sel:WORD_1
	v_fma_f16 v111, v48, s23, v110
	v_add_f16_e32 v43, v47, v43
	v_fma_f16 v47, v61, s2, -v63
	v_add_f16_e32 v109, v111, v109
	v_mul_f16_e32 v111, 0xb5ac, v49
	v_add_f16_e32 v47, v47, v19
	v_fma_f16 v50, v65, s4, -v67
	v_fma_f16 v112, v51, s22, v111
	v_add_f16_e32 v47, v50, v47
	v_fma_f16 v50, v68, s3, -v70
	v_add_f16_e32 v109, v112, v109
	v_mul_f16_e32 v112, 0x3b15, v52
	v_add_f16_e32 v47, v50, v47
	v_fma_f16 v50, v71, s5, -v73
	;; [unrolled: 7-line block ×3, first 2 shown]
	v_fma_f16 v114, v57, s26, v113
	v_add_f16_e32 v47, v50, v47
	v_fma_f16 v50, v44, s21, v80
	v_add_f16_e32 v109, v114, v109
	v_mul_f16_e32 v114, 0xb9fd, v58
	v_add_f16_sdwa v50, v50, v19 dst_sel:DWORD dst_unused:UNUSED_PAD src0_sel:DWORD src1_sel:WORD_1
	v_fma_f16 v53, v48, s25, v82
	v_fma_f16 v115, v60, s20, v114
	v_add_f16_e32 v50, v53, v50
	v_fma_f16 v53, v51, s17, v83
	v_add_f16_e32 v109, v115, v109
	v_mul_f16_e32 v115, 0xbbf1, v62
	v_add_f16_e32 v50, v53, v50
	v_fma_f16 v53, v54, s23, v84
	v_fma_f16 v116, v61, s16, v115
	v_mul_f16_e32 v117, 0xb3a8, v66
	v_add_f16_e32 v50, v53, v50
	v_fma_f16 v53, v57, s27, v85
	v_add_f16_e32 v116, v116, v19
	v_fma_f16 v118, v65, s2, v117
	;; [unrolled: 2-line block ×3, first 2 shown]
	v_add_f16_e32 v116, v118, v116
	v_mul_f16_e32 v118, 0x3b7b, v69
	v_add_f16_e32 v50, v53, v50
	v_fma_f16 v53, v61, s3, -v87
	v_fma_f16 v119, v68, s15, v118
	v_add_f16_e32 v53, v53, v19
	v_fma_f16 v56, v65, s16, -v89
	v_add_f16_e32 v116, v119, v116
	v_mul_f16_e32 v119, 0x3770, v72
	v_add_f16_e32 v53, v56, v53
	v_fma_f16 v56, v68, s5, -v90
	v_fma_f16 v120, v71, s4, v119
	v_add_f16_e32 v53, v56, v53
	v_fma_f16 v56, v71, s2, -v91
	v_add_f16_e32 v116, v120, v116
	v_mul_f16_e32 v120, 0xba95, v75
	v_add_f16_e32 v53, v56, v53
	v_fma_f16 v56, v74, s4, -v92
	v_fma_f16 v121, v74, s5, v120
	v_add_f16_e32 v53, v56, v53
	v_fma_f16 v56, v77, s15, -v93
	v_add_f16_e32 v116, v121, v116
	v_mul_f16_e32 v121, 0xb94e, v78
	v_add_f16_e32 v53, v56, v53
	v_fma_f16 v56, v44, s22, v94
	v_fma_f16 v122, v77, s3, v121
	v_add_f16_sdwa v56, v56, v19 dst_sel:DWORD dst_unused:UNUSED_PAD src0_sel:DWORD src1_sel:WORD_1
	v_fma_f16 v59, v48, s20, v96
	v_add_f16_e32 v116, v122, v116
	v_mul_f16_e32 v122, 0x388b, v42
	v_add_f16_e32 v56, v59, v56
	v_fma_f16 v59, v51, s27, v97
	v_fma_f16 v123, v44, s26, v122
	v_mul_f16_e32 v124, 0xb5ac, v46
	v_add_f16_e32 v56, v59, v56
	v_fma_f16 v59, v54, s19, v98
	v_add_f16_sdwa v123, v123, v19 dst_sel:DWORD dst_unused:UNUSED_PAD src0_sel:DWORD src1_sel:WORD_1
	v_fma_f16 v125, v48, s24, v124
	v_add_f16_e32 v56, v59, v56
	v_fma_f16 v59, v57, s23, v99
	v_add_f16_e32 v123, v125, v123
	v_mul_f16_e32 v125, 0xbbc4, v49
	v_add_f16_e32 v56, v59, v56
	v_fma_f16 v59, v60, s26, v100
	v_fma_f16 v126, v51, s23, v125
	v_add_f16_e32 v56, v59, v56
	v_fma_f16 v59, v61, s15, -v101
	v_add_f16_e32 v123, v126, v123
	v_mul_f16_e32 v126, 0xb9fd, v52
	v_add_f16_e32 v59, v59, v19
	v_fma_f16 v63, v65, s3, -v103
	v_fma_f16 v127, v54, s21, v126
	v_add_f16_e32 v59, v63, v59
	v_fma_f16 v63, v68, s4, -v104
	v_add_f16_e32 v123, v127, v123
	v_mul_f16_e32 v127, 0x2fb7, v55
	v_add_f16_e32 v59, v63, v59
	v_fma_f16 v63, v71, s16, -v105
	;; [unrolled: 7-line block ×3, first 2 shown]
	v_fma_f16 v129, v60, s14, v128
	v_add_f16_e32 v59, v63, v59
	v_fma_f16 v63, v44, s19, v108
	v_add_f16_e32 v123, v129, v123
	v_mul_f16_e32 v129, 0xba95, v62
	v_add_f16_sdwa v63, v63, v19 dst_sel:DWORD dst_unused:UNUSED_PAD src0_sel:DWORD src1_sel:WORD_1
	v_fma_f16 v67, v48, s18, v110
	v_fma_f16 v130, v61, s5, v129
	v_mul_f16_e32 v131, 0xbb7b, v66
	v_add_f16_e32 v63, v67, v63
	v_fma_f16 v67, v51, s24, v111
	v_add_f16_e32 v130, v130, v19
	v_fma_f16 v132, v65, s15, v131
	;; [unrolled: 2-line block ×3, first 2 shown]
	v_add_f16_e32 v130, v132, v130
	v_mul_f16_e32 v132, 0xb3a8, v69
	v_add_f16_e32 v63, v67, v63
	v_fma_f16 v67, v57, s17, v113
	v_fma_f16 v133, v68, s2, v132
	v_add_f16_e32 v63, v67, v63
	v_fma_f16 v67, v60, s21, v114
	v_add_f16_e32 v130, v133, v130
	v_mul_f16_e32 v133, 0x394e, v72
	v_add_f16_e32 v63, v67, v63
	v_fma_f16 v67, v61, s16, -v115
	v_fma_f16 v134, v71, s3, v133
	v_add_f16_e32 v67, v67, v19
	v_fma_f16 v70, v65, s2, -v117
	v_add_f16_e32 v130, v134, v130
	v_mul_f16_e32 v134, 0x3bf1, v75
	v_add_f16_e32 v67, v70, v67
	v_fma_f16 v70, v68, s15, -v118
	v_fma_f16 v135, v74, s16, v134
	v_add_f16_e32 v67, v70, v67
	v_fma_f16 v70, v71, s4, -v119
	v_add_f16_e32 v130, v135, v130
	v_mul_f16_e32 v135, 0x3770, v78
	v_add_f16_e32 v67, v70, v67
	v_fma_f16 v70, v74, s5, -v120
	v_fma_f16 v136, v77, s4, v135
	v_mul_f16_e32 v42, 0x3b15, v42
	v_add_f16_e32 v67, v70, v67
	v_fma_f16 v70, v77, s3, -v121
	v_add_f16_e32 v130, v136, v130
	v_fma_f16 v136, v44, s27, v42
	v_mul_f16_e32 v46, 0x388b, v46
	v_add_f16_e32 v67, v70, v67
	v_fma_f16 v70, v44, s17, v122
	v_fma_f16 v42, v44, s14, v42
	v_add_f16_sdwa v136, v136, v19 dst_sel:DWORD dst_unused:UNUSED_PAD src0_sel:DWORD src1_sel:WORD_1
	v_fma_f16 v137, v48, s26, v46
	v_mul_f16_e32 v49, 0x2fb7, v49
	v_add_f16_sdwa v70, v70, v19 dst_sel:DWORD dst_unused:UNUSED_PAD src0_sel:DWORD src1_sel:WORD_1
	v_fma_f16 v73, v48, s22, v124
	v_add_f16_sdwa v42, v42, v19 dst_sel:DWORD dst_unused:UNUSED_PAD src0_sel:DWORD src1_sel:WORD_1
	v_fma_f16 v44, v48, s17, v46
	v_add_f16_e32 v136, v137, v136
	v_fma_f16 v137, v51, s25, v49
	v_mul_f16_e32 v52, 0xb5ac, v52
	v_add_f16_e32 v70, v73, v70
	v_fma_f16 v73, v51, s18, v125
	v_add_f16_e32 v42, v44, v42
	v_fma_f16 v44, v51, s19, v49
	v_add_f16_e32 v136, v137, v136
	v_fma_f16 v137, v54, s24, v52
	v_mul_f16_e32 v55, 0xb9fd, v55
	v_add_f16_e32 v70, v73, v70
	v_fma_f16 v73, v54, s20, v126
	v_add_f16_e32 v42, v44, v42
	;; [unrolled: 7-line block ×4, first 2 shown]
	v_fma_f16 v44, v60, s18, v58
	v_add_f16_e32 v136, v137, v136
	v_fma_f16 v137, v61, s4, v62
	v_add_f16_e32 v70, v73, v70
	v_fma_f16 v73, v61, s5, -v129
	v_add_f16_e32 v42, v44, v42
	v_fma_f16 v44, v61, s4, -v62
	v_add_f16_e32 v137, v137, v19
	v_add_f16_e32 v73, v73, v19
	;; [unrolled: 1-line block ×3, first 2 shown]
	v_add_f16_sdwa v36, v36, v19 dst_sel:DWORD dst_unused:UNUSED_PAD src0_sel:DWORD src1_sel:WORD_1
	v_add_f16_e32 v19, v20, v19
	v_add_f16_e32 v36, v37, v36
	;; [unrolled: 1-line block ×11, first 2 shown]
	v_mul_f16_e32 v66, 0xba95, v66
	v_add_f16_e32 v33, v33, v36
	v_add_f16_e32 v13, v14, v13
	v_fma_f16 v138, v65, s5, v66
	v_mul_f16_e32 v69, 0xbbf1, v69
	v_add_f16_e32 v33, v34, v33
	v_add_f16_e32 v11, v11, v13
	v_add_f16_e32 v137, v138, v137
	v_fma_f16 v138, v68, s16, v69
	v_mul_f16_e32 v72, 0xbb7b, v72
	v_add_f16_e32 v32, v32, v33
	;; [unrolled: 5-line block ×4, first 2 shown]
	v_add_f16_e32 v9, v10, v9
	v_add_f16_e32 v137, v138, v137
	v_fma_f16 v138, v77, s2, v78
	v_add_f16_sdwa v29, v29, v30 dst_sel:WORD_1 dst_unused:UNUSED_PAD src0_sel:DWORD src1_sel:DWORD
	v_add_f16_e32 v9, v28, v9
	v_add_f16_e32 v137, v138, v137
	v_fma_f16 v76, v65, s15, -v131
	v_fma_f16 v46, v65, s5, -v66
	v_or_b32_e32 v9, v29, v9
	v_lshlrev_b32_e32 v10, 2, v27
	v_add_f16_e32 v73, v76, v73
	v_fma_f16 v76, v68, s2, -v132
	v_add_f16_e32 v44, v46, v44
	v_fma_f16 v46, v68, s16, -v69
	ds_write_b32 v10, v9
	v_pack_b32_f16 v9, v130, v123
	v_pack_b32_f16 v11, v137, v136
	v_add_f16_e32 v73, v76, v73
	v_fma_f16 v76, v71, s3, -v133
	v_add_f16_e32 v44, v46, v44
	v_fma_f16 v46, v71, s15, -v72
	ds_write2_b32 v10, v11, v9 offset0:1 offset1:2
	v_pack_b32_f16 v9, v102, v95
	v_pack_b32_f16 v11, v116, v109
	v_add_f16_e32 v73, v76, v73
	v_fma_f16 v76, v74, s16, -v134
	v_add_f16_e32 v44, v46, v44
	v_fma_f16 v46, v74, s3, -v75
	ds_write2_b32 v10, v11, v9 offset0:3 offset1:4
	;; [unrolled: 7-line block ×3, first 2 shown]
	v_pack_b32_f16 v9, v53, v50
	v_pack_b32_f16 v11, v47, v43
	v_add_f16_e32 v73, v76, v73
	v_add_f16_e32 v44, v46, v44
	ds_write2_b32 v10, v11, v9 offset0:7 offset1:8
	v_pack_b32_f16 v9, v67, v63
	v_pack_b32_f16 v11, v59, v56
	ds_write2_b32 v10, v11, v9 offset0:9 offset1:10
	v_pack_b32_f16 v9, v44, v42
	v_pack_b32_f16 v11, v73, v70
	ds_write2_b32 v10, v11, v9 offset0:11 offset1:12
.LBB0_13:
	s_or_b64 exec, exec, s[0:1]
	s_waitcnt lgkmcnt(0)
	s_barrier
	ds_read2_b32 v[11:12], v25 offset1:91
	v_add_u32_e32 v10, 0x200, v25
	ds_read2_b32 v[13:14], v10 offset0:54 offset1:145
	v_add_u32_e32 v9, 0x400, v25
	ds_read2_b32 v[19:20], v9 offset0:108 offset1:199
	s_waitcnt lgkmcnt(2)
	v_lshrrev_b32_e32 v21, 16, v12
	v_mul_f16_sdwa v30, v0, v21 dst_sel:DWORD dst_unused:UNUSED_PAD src0_sel:WORD_1 src1_sel:DWORD
	s_waitcnt lgkmcnt(1)
	v_lshrrev_b32_e32 v23, 16, v13
	v_fma_f16 v30, v0, v12, v30
	v_mul_f16_sdwa v12, v0, v12 dst_sel:DWORD dst_unused:UNUSED_PAD src0_sel:WORD_1 src1_sel:DWORD
	v_fma_f16 v0, v0, v21, -v12
	v_mul_f16_sdwa v12, v1, v23 dst_sel:DWORD dst_unused:UNUSED_PAD src0_sel:WORD_1 src1_sel:DWORD
	v_lshrrev_b32_e32 v24, 16, v14
	v_fma_f16 v12, v1, v13, v12
	v_mul_f16_sdwa v13, v1, v13 dst_sel:DWORD dst_unused:UNUSED_PAD src0_sel:WORD_1 src1_sel:DWORD
	ds_read_b32 v22, v25 offset:2184
	v_fma_f16 v1, v1, v23, -v13
	v_mul_f16_sdwa v13, v2, v24 dst_sel:DWORD dst_unused:UNUSED_PAD src0_sel:WORD_1 src1_sel:DWORD
	s_waitcnt lgkmcnt(1)
	v_lshrrev_b32_e32 v27, 16, v19
	v_fma_f16 v13, v2, v14, v13
	v_mul_f16_sdwa v14, v2, v14 dst_sel:DWORD dst_unused:UNUSED_PAD src0_sel:WORD_1 src1_sel:DWORD
	v_fma_f16 v2, v2, v24, -v14
	v_mul_f16_sdwa v14, v3, v27 dst_sel:DWORD dst_unused:UNUSED_PAD src0_sel:WORD_1 src1_sel:DWORD
	v_lshrrev_b32_e32 v28, 16, v20
	v_fma_f16 v14, v3, v19, v14
	v_mul_f16_sdwa v19, v3, v19 dst_sel:DWORD dst_unused:UNUSED_PAD src0_sel:WORD_1 src1_sel:DWORD
	v_fma_f16 v3, v3, v27, -v19
	v_mul_f16_sdwa v19, v15, v28 dst_sel:DWORD dst_unused:UNUSED_PAD src0_sel:WORD_1 src1_sel:DWORD
	s_waitcnt lgkmcnt(0)
	v_lshrrev_b32_e32 v29, 16, v22
	v_fma_f16 v19, v15, v20, v19
	v_mul_f16_sdwa v20, v15, v20 dst_sel:DWORD dst_unused:UNUSED_PAD src0_sel:WORD_1 src1_sel:DWORD
	v_fma_f16 v15, v15, v28, -v20
	v_mul_f16_sdwa v20, v16, v29 dst_sel:DWORD dst_unused:UNUSED_PAD src0_sel:WORD_1 src1_sel:DWORD
	v_mul_f16_sdwa v21, v16, v22 dst_sel:DWORD dst_unused:UNUSED_PAD src0_sel:WORD_1 src1_sel:DWORD
	v_fma_f16 v20, v16, v22, v20
	v_fma_f16 v16, v16, v29, -v21
	v_add_f16_e32 v21, v30, v20
	v_add_f16_e32 v22, v0, v16
	v_sub_f16_e32 v0, v0, v16
	v_add_f16_e32 v16, v12, v19
	v_add_f16_e32 v23, v1, v15
	v_sub_f16_e32 v12, v12, v19
	v_sub_f16_e32 v1, v1, v15
	v_add_f16_e32 v15, v13, v14
	v_add_f16_e32 v19, v2, v3
	v_sub_f16_e32 v13, v14, v13
	;; [unrolled: 4-line block ×3, first 2 shown]
	v_add_f16_e32 v3, v15, v3
	v_add_f16_e32 v14, v19, v14
	v_sub_f16_e32 v24, v16, v21
	v_sub_f16_e32 v27, v23, v22
	;; [unrolled: 1-line block ×6, first 2 shown]
	v_add_f16_e32 v28, v13, v12
	v_add_f16_e32 v29, v2, v1
	v_sub_f16_e32 v30, v13, v12
	v_sub_f16_e32 v31, v2, v1
	;; [unrolled: 1-line block ×4, first 2 shown]
	v_add_f16_e32 v19, v3, v11
	v_add_f16_sdwa v11, v14, v11 dst_sel:DWORD dst_unused:UNUSED_PAD src0_sel:DWORD src1_sel:WORD_1
	v_sub_f16_e32 v13, v20, v13
	v_sub_f16_e32 v2, v0, v2
	v_add_f16_e32 v15, v28, v20
	v_add_f16_e32 v0, v29, v0
	v_lshlrev_b32_e32 v20, 16, v11
	v_mul_f16_e32 v21, 0x3a52, v21
	v_mul_f16_e32 v22, 0x3a52, v22
	s_movk_i32 s0, 0x2b26
	v_mul_f16_e32 v28, 0x2b26, v16
	v_mul_f16_e32 v29, 0x2b26, v23
	;; [unrolled: 1-line block ×4, first 2 shown]
	s_mov_b32 s1, 0xbb00
	v_mul_f16_e32 v32, 0xbb00, v12
	v_mul_f16_e32 v33, 0xbb00, v1
	s_mov_b32 s2, 0xbcab
	s_movk_i32 s3, 0x39e0
	s_mov_b32 s4, 0xb9e0
	s_mov_b32 s5, 0xb574
	s_movk_i32 s14, 0x3574
	v_or_b32_e32 v20, v20, v19
	v_fma_f16 v3, v3, s2, v19
	v_fma_f16 v11, v14, s2, v11
	;; [unrolled: 1-line block ×4, first 2 shown]
	v_fma_f16 v19, v24, s3, -v28
	v_fma_f16 v23, v27, s3, -v29
	;; [unrolled: 1-line block ×4, first 2 shown]
	v_fma_f16 v24, v13, s5, v30
	v_fma_f16 v27, v2, s5, v31
	v_fma_f16 v12, v12, s1, -v30
	v_fma_f16 v1, v1, s1, -v31
	;; [unrolled: 1-line block ×4, first 2 shown]
	s_mov_b32 s15, 0xb70e
	v_add_f16_e32 v14, v14, v3
	v_add_f16_e32 v16, v16, v11
	;; [unrolled: 1-line block ×6, first 2 shown]
	v_fma_f16 v21, v15, s15, v24
	v_fma_f16 v22, v0, s15, v27
	;; [unrolled: 1-line block ×6, first 2 shown]
	v_add_f16_e32 v2, v22, v14
	v_sub_f16_e32 v15, v16, v21
	v_add_f16_e32 v24, v0, v3
	v_sub_f16_e32 v28, v19, v1
	v_add_f16_e32 v29, v12, v23
	v_add_f16_e32 v1, v1, v19
	v_sub_f16_e32 v12, v23, v12
	v_sub_f16_e32 v0, v3, v0
	v_add_f16_e32 v3, v13, v11
	v_sub_f16_e32 v27, v11, v13
	v_sub_f16_e32 v11, v14, v22
	v_add_f16_e32 v13, v21, v16
	v_pack_b32_f16 v2, v2, v15
	v_pack_b32_f16 v1, v1, v12
	;; [unrolled: 1-line block ×3, first 2 shown]
	s_barrier
	ds_write2_b32 v35, v20, v2 offset1:13
	v_pack_b32_f16 v2, v24, v27
	v_pack_b32_f16 v14, v28, v29
	ds_write2_b32 v35, v1, v0 offset0:52 offset1:65
	v_pack_b32_f16 v0, v11, v13
	ds_write2_b32 v35, v2, v14 offset0:26 offset1:39
	ds_write_b32 v35, v0 offset:312
	s_waitcnt lgkmcnt(0)
	s_barrier
	ds_read2_b32 v[0:1], v25 offset1:91
	ds_read2_b32 v[2:3], v10 offset0:54 offset1:145
	ds_read2_b32 v[11:12], v9 offset0:108 offset1:199
	ds_read_b32 v14, v25 offset:2184
	s_waitcnt lgkmcnt(3)
	v_lshrrev_b32_e32 v13, 16, v1
	v_mul_f16_sdwa v22, v4, v13 dst_sel:DWORD dst_unused:UNUSED_PAD src0_sel:WORD_1 src1_sel:DWORD
	s_waitcnt lgkmcnt(2)
	v_lshrrev_b32_e32 v15, 16, v2
	v_fma_f16 v22, v4, v1, v22
	v_mul_f16_sdwa v1, v4, v1 dst_sel:DWORD dst_unused:UNUSED_PAD src0_sel:WORD_1 src1_sel:DWORD
	v_fma_f16 v1, v4, v13, -v1
	v_mul_f16_sdwa v4, v5, v15 dst_sel:DWORD dst_unused:UNUSED_PAD src0_sel:WORD_1 src1_sel:DWORD
	v_lshrrev_b32_e32 v16, 16, v3
	v_fma_f16 v4, v5, v2, v4
	v_mul_f16_sdwa v2, v5, v2 dst_sel:DWORD dst_unused:UNUSED_PAD src0_sel:WORD_1 src1_sel:DWORD
	v_fma_f16 v2, v5, v15, -v2
	v_mul_f16_sdwa v5, v6, v16 dst_sel:DWORD dst_unused:UNUSED_PAD src0_sel:WORD_1 src1_sel:DWORD
	s_waitcnt lgkmcnt(1)
	v_lshrrev_b32_e32 v19, 16, v11
	v_fma_f16 v5, v6, v3, v5
	v_mul_f16_sdwa v3, v6, v3 dst_sel:DWORD dst_unused:UNUSED_PAD src0_sel:WORD_1 src1_sel:DWORD
	v_fma_f16 v3, v6, v16, -v3
	v_mul_f16_sdwa v6, v7, v19 dst_sel:DWORD dst_unused:UNUSED_PAD src0_sel:WORD_1 src1_sel:DWORD
	v_lshrrev_b32_e32 v20, 16, v12
	s_waitcnt lgkmcnt(0)
	v_lshrrev_b32_e32 v21, 16, v14
	v_fma_f16 v6, v7, v11, v6
	v_mul_f16_sdwa v11, v7, v11 dst_sel:DWORD dst_unused:UNUSED_PAD src0_sel:WORD_1 src1_sel:DWORD
	v_fma_f16 v7, v7, v19, -v11
	v_mul_f16_sdwa v11, v17, v20 dst_sel:DWORD dst_unused:UNUSED_PAD src0_sel:WORD_1 src1_sel:DWORD
	v_mul_f16_sdwa v13, v18, v21 dst_sel:DWORD dst_unused:UNUSED_PAD src0_sel:WORD_1 src1_sel:DWORD
	v_fma_f16 v11, v17, v12, v11
	v_mul_f16_sdwa v12, v17, v12 dst_sel:DWORD dst_unused:UNUSED_PAD src0_sel:WORD_1 src1_sel:DWORD
	v_fma_f16 v13, v18, v14, v13
	v_mul_f16_sdwa v14, v18, v14 dst_sel:DWORD dst_unused:UNUSED_PAD src0_sel:WORD_1 src1_sel:DWORD
	v_fma_f16 v12, v17, v20, -v12
	v_fma_f16 v14, v18, v21, -v14
	v_add_f16_e32 v15, v22, v13
	v_add_f16_e32 v16, v1, v14
	v_sub_f16_e32 v1, v1, v14
	v_add_f16_e32 v14, v4, v11
	v_add_f16_e32 v17, v2, v12
	v_sub_f16_e32 v4, v4, v11
	v_sub_f16_e32 v2, v2, v12
	v_add_f16_e32 v11, v5, v6
	v_add_f16_e32 v12, v3, v7
	v_sub_f16_e32 v5, v6, v5
	;; [unrolled: 4-line block ×3, first 2 shown]
	v_add_f16_e32 v6, v11, v6
	v_add_f16_e32 v7, v12, v7
	v_sub_f16_e32 v18, v14, v15
	v_sub_f16_e32 v19, v17, v16
	;; [unrolled: 1-line block ×6, first 2 shown]
	v_add_f16_e32 v20, v5, v4
	v_add_f16_e32 v21, v3, v2
	v_sub_f16_e32 v22, v5, v4
	v_sub_f16_e32 v23, v3, v2
	;; [unrolled: 1-line block ×4, first 2 shown]
	v_add_f16_e32 v12, v6, v0
	v_add_f16_sdwa v0, v7, v0 dst_sel:DWORD dst_unused:UNUSED_PAD src0_sel:DWORD src1_sel:WORD_1
	v_sub_f16_e32 v5, v13, v5
	v_sub_f16_e32 v3, v1, v3
	v_add_f16_e32 v11, v20, v13
	v_add_f16_e32 v1, v21, v1
	v_lshlrev_b32_e32 v13, 16, v0
	v_mul_f16_e32 v15, 0x3a52, v15
	v_mul_f16_e32 v16, 0x3a52, v16
	;; [unrolled: 1-line block ×8, first 2 shown]
	v_or_b32_e32 v13, v13, v12
	v_fma_f16 v6, v6, s2, v12
	v_fma_f16 v0, v7, s2, v0
	;; [unrolled: 1-line block ×4, first 2 shown]
	v_fma_f16 v14, v18, s3, -v20
	v_fma_f16 v17, v19, s3, -v21
	;; [unrolled: 1-line block ×4, first 2 shown]
	v_fma_f16 v18, v5, s5, v22
	v_fma_f16 v19, v3, s5, v23
	v_fma_f16 v4, v4, s1, -v22
	v_fma_f16 v2, v2, s1, -v23
	;; [unrolled: 1-line block ×4, first 2 shown]
	v_add_f16_e32 v7, v7, v6
	v_add_f16_e32 v12, v12, v0
	;; [unrolled: 1-line block ×6, first 2 shown]
	v_fma_f16 v15, v11, s15, v18
	v_fma_f16 v16, v1, s15, v19
	;; [unrolled: 1-line block ×6, first 2 shown]
	v_add_f16_e32 v3, v16, v7
	v_sub_f16_e32 v11, v12, v15
	v_add_f16_e32 v18, v1, v6
	v_sub_f16_e32 v19, v0, v5
	v_sub_f16_e32 v20, v14, v2
	v_add_f16_e32 v21, v4, v17
	v_add_f16_e32 v2, v2, v14
	v_sub_f16_e32 v4, v17, v4
	v_sub_f16_e32 v1, v6, v1
	v_add_f16_e32 v0, v5, v0
	v_sub_f16_e32 v5, v7, v16
	v_add_f16_e32 v6, v15, v12
	v_pack_b32_f16 v3, v3, v11
	v_pack_b32_f16 v2, v2, v4
	;; [unrolled: 1-line block ×3, first 2 shown]
	ds_write2_b32 v25, v13, v3 offset1:91
	v_pack_b32_f16 v3, v18, v19
	v_pack_b32_f16 v7, v20, v21
	ds_write2_b32 v9, v2, v0 offset0:108 offset1:199
	v_pack_b32_f16 v0, v5, v6
	ds_write2_b32 v10, v3, v7 offset0:54 offset1:145
	ds_write_b32 v25, v0 offset:2184
	s_waitcnt lgkmcnt(0)
	s_barrier
	s_and_b64 exec, exec, vcc
	s_cbranch_execz .LBB0_15
; %bb.14:
	global_load_dword v7, v25, s[6:7]
	global_load_dword v6, v25, s[6:7] offset:196
	ds_read_b32 v19, v25
	v_mad_u64_u32 v[15:16], s[0:1], s10, v8, 0
	v_mad_u64_u32 v[2:3], s[0:1], s8, v26, 0
	v_mov_b32_e32 v4, 0x7c00
	v_mad_u64_u32 v[16:17], s[0:1], s11, v8, v[16:17]
	s_waitcnt lgkmcnt(0)
	v_lshrrev_b32_e32 v8, 16, v19
	v_mad_u64_u32 v[17:18], s[0:1], s9, v26, v[3:4]
	s_mov_b32 s14, 0xf5262dd1
	s_mov_b32 s15, 0x3f59b876
	ds_read2_b32 v[0:1], v25 offset0:49 offset1:98
	s_movk_i32 s18, 0x1ff
	global_load_dword v11, v25, s[6:7] offset:392
	global_load_dword v12, v25, s[6:7] offset:588
	;; [unrolled: 1-line block ×5, first 2 shown]
	s_movk_i32 s17, 0xffe
	s_movk_i32 s16, 0x40f
	s_waitcnt lgkmcnt(0)
	v_lshrrev_b32_e32 v22, 16, v0
	s_mov_b32 s10, 0x8000
	v_lshlrev_b64 v[15:16], 2, v[15:16]
	s_waitcnt vmcnt(6)
	v_mul_f16_sdwa v3, v8, v7 dst_sel:DWORD dst_unused:UNUSED_PAD src0_sel:DWORD src1_sel:WORD_1
	v_fma_f16 v3, v19, v7, v3
	v_mul_f16_sdwa v18, v19, v7 dst_sel:DWORD dst_unused:UNUSED_PAD src0_sel:DWORD src1_sel:WORD_1
	v_cvt_f32_f16_e32 v3, v3
	v_fma_f16 v7, v7, v8, -v18
	v_cvt_f32_f16_e32 v18, v7
	v_cvt_f64_f32_e32 v[7:8], v3
	s_waitcnt vmcnt(5)
	v_mul_f16_sdwa v3, v22, v6 dst_sel:DWORD dst_unused:UNUSED_PAD src0_sel:DWORD src1_sel:WORD_1
	v_cvt_f64_f32_e32 v[18:19], v18
	v_fma_f16 v3, v0, v6, v3
	v_mul_f64 v[7:8], v[7:8], s[14:15]
	v_cvt_f32_f16_e32 v20, v3
	v_mul_f64 v[18:19], v[18:19], s[14:15]
	v_mov_b32_e32 v3, v17
	v_lshlrev_b64 v[2:3], 2, v[2:3]
	v_cvt_f64_f32_e32 v[20:21], v20
	v_mul_f16_sdwa v0, v0, v6 dst_sel:DWORD dst_unused:UNUSED_PAD src0_sel:DWORD src1_sel:WORD_1
	v_fma_f16 v0, v6, v22, -v0
	v_and_or_b32 v7, v8, s18, v7
	v_cmp_ne_u32_e32 vcc, 0, v7
	v_and_or_b32 v18, v19, s18, v18
	v_lshrrev_b32_e32 v17, 8, v8
	v_bfe_u32 v23, v8, 20, 11
	v_cndmask_b32_e64 v7, 0, 1, vcc
	v_cmp_ne_u32_e32 vcc, 0, v18
	v_lshrrev_b32_e32 v24, 8, v19
	v_bfe_u32 v26, v19, 20, 11
	v_sub_u32_e32 v27, 0x3f1, v23
	v_cndmask_b32_e64 v18, 0, 1, vcc
	v_and_or_b32 v7, v17, s17, v7
	v_sub_u32_e32 v28, 0x3f1, v26
	v_med3_i32 v17, v27, 0, 13
	v_and_or_b32 v18, v24, s17, v18
	v_or_b32_e32 v27, 0x1000, v7
	v_add_u32_e32 v23, 0xfffffc10, v23
	v_med3_i32 v24, v28, 0, 13
	v_cmp_ne_u32_e32 vcc, 0, v7
	v_or_b32_e32 v29, 0x1000, v18
	v_lshrrev_b32_e32 v31, v17, v27
	v_add_u32_e32 v26, 0xfffffc10, v26
	v_lshl_or_b32 v28, v23, 12, v7
	v_cndmask_b32_e64 v7, 0, 1, vcc
	v_cmp_ne_u32_e32 vcc, 0, v18
	v_lshrrev_b32_e32 v32, v24, v29
	v_lshlrev_b32_e32 v17, v17, v31
	v_lshl_or_b32 v30, v26, 12, v18
	v_cndmask_b32_e64 v18, 0, 1, vcc
	v_lshlrev_b32_e32 v24, v24, v32
	v_cmp_ne_u32_e32 vcc, v17, v27
	v_cndmask_b32_e64 v17, 0, 1, vcc
	v_cmp_ne_u32_e32 vcc, v24, v29
	v_cndmask_b32_e64 v24, 0, 1, vcc
	v_or_b32_e32 v17, v31, v17
	v_cmp_gt_i32_e32 vcc, 1, v23
	v_cndmask_b32_e32 v17, v28, v17, vcc
	v_or_b32_e32 v24, v32, v24
	v_cmp_gt_i32_e32 vcc, 1, v26
	v_and_b32_e32 v27, 7, v17
	v_cndmask_b32_e32 v24, v30, v24, vcc
	v_cmp_lt_i32_e32 vcc, 5, v27
	v_cmp_eq_u32_e64 s[0:1], 3, v27
	v_lshrrev_b32_e32 v17, 2, v17
	v_and_b32_e32 v28, 7, v24
	s_or_b64 vcc, s[0:1], vcc
	v_cmp_lt_i32_e64 s[2:3], 5, v28
	v_cmp_eq_u32_e64 s[4:5], 3, v28
	v_addc_co_u32_e32 v17, vcc, 0, v17, vcc
	v_lshrrev_b32_e32 v24, 2, v24
	s_or_b64 vcc, s[4:5], s[2:3]
	v_addc_co_u32_e32 v24, vcc, 0, v24, vcc
	v_cmp_gt_i32_e32 vcc, 31, v23
	v_cndmask_b32_e32 v17, v4, v17, vcc
	v_cmp_gt_i32_e32 vcc, 31, v26
	v_lshl_or_b32 v7, v7, 9, v4
	v_cndmask_b32_e32 v24, v4, v24, vcc
	v_cmp_eq_u32_e32 vcc, s16, v23
	v_lshrrev_b32_e32 v8, 16, v8
	v_lshl_or_b32 v18, v18, 9, v4
	v_cndmask_b32_e32 v7, v17, v7, vcc
	v_cmp_eq_u32_e32 vcc, s16, v26
	v_lshrrev_b32_e32 v19, 16, v19
	v_cndmask_b32_e32 v17, v24, v18, vcc
	v_and_or_b32 v7, v8, s10, v7
	v_and_or_b32 v8, v19, s10, v17
	v_and_b32_e32 v7, 0xffff, v7
	v_lshl_or_b32 v17, v8, 16, v7
	v_mul_f64 v[7:8], v[20:21], s[14:15]
	v_mov_b32_e32 v18, s13
	v_add_co_u32_e32 v15, vcc, s12, v15
	v_addc_co_u32_e32 v16, vcc, v18, v16, vcc
	v_add_co_u32_e32 v2, vcc, v15, v2
	v_addc_co_u32_e32 v3, vcc, v16, v3, vcc
	v_and_or_b32 v7, v8, s18, v7
	v_cmp_ne_u32_e32 vcc, 0, v7
	v_cndmask_b32_e64 v7, 0, 1, vcc
	v_lshrrev_b32_e32 v15, 8, v8
	v_bfe_u32 v16, v8, 20, 11
	global_store_dword v[2:3], v17, off
	v_and_or_b32 v15, v15, s17, v7
	v_sub_u32_e32 v17, 0x3f1, v16
	v_or_b32_e32 v7, 0x1000, v15
	v_med3_i32 v17, v17, 0, 13
	v_lshrrev_b32_e32 v18, v17, v7
	v_lshlrev_b32_e32 v17, v17, v18
	v_cmp_ne_u32_e32 vcc, v17, v7
	v_cndmask_b32_e64 v7, 0, 1, vcc
	v_add_u32_e32 v16, 0xfffffc10, v16
	v_cvt_f32_f16_e32 v0, v0
	v_or_b32_e32 v7, v18, v7
	v_lshl_or_b32 v17, v16, 12, v15
	v_cmp_gt_i32_e32 vcc, 1, v16
	v_cndmask_b32_e32 v7, v17, v7, vcc
	v_and_b32_e32 v17, 7, v7
	v_cmp_lt_i32_e32 vcc, 5, v17
	v_cmp_eq_u32_e64 s[0:1], 3, v17
	v_lshrrev_b32_e32 v17, 2, v7
	v_cvt_f64_f32_e32 v[6:7], v0
	s_or_b64 vcc, s[0:1], vcc
	v_addc_co_u32_e32 v0, vcc, 0, v17, vcc
	v_mul_f64 v[6:7], v[6:7], s[14:15]
	v_cmp_gt_i32_e32 vcc, 31, v16
	v_cndmask_b32_e32 v0, v4, v0, vcc
	v_cmp_ne_u32_e32 vcc, 0, v15
	v_cndmask_b32_e64 v15, 0, 1, vcc
	v_lshl_or_b32 v15, v15, 9, v4
	v_cmp_eq_u32_e32 vcc, s16, v16
	v_cndmask_b32_e32 v0, v0, v15, vcc
	v_and_or_b32 v6, v7, s18, v6
	v_lshrrev_b32_e32 v8, 16, v8
	v_cmp_ne_u32_e32 vcc, 0, v6
	v_and_or_b32 v0, v8, s10, v0
	v_cndmask_b32_e64 v6, 0, 1, vcc
	v_lshrrev_b32_e32 v8, 8, v7
	v_bfe_u32 v15, v7, 20, 11
	v_and_or_b32 v6, v8, s17, v6
	v_sub_u32_e32 v16, 0x3f1, v15
	v_or_b32_e32 v8, 0x1000, v6
	v_med3_i32 v16, v16, 0, 13
	v_lshrrev_b32_e32 v17, v16, v8
	v_lshlrev_b32_e32 v16, v16, v17
	v_cmp_ne_u32_e32 vcc, v16, v8
	v_cndmask_b32_e64 v8, 0, 1, vcc
	v_add_u32_e32 v15, 0xfffffc10, v15
	v_or_b32_e32 v8, v17, v8
	v_lshl_or_b32 v16, v15, 12, v6
	v_cmp_gt_i32_e32 vcc, 1, v15
	v_cndmask_b32_e32 v8, v16, v8, vcc
	v_and_b32_e32 v16, 7, v8
	v_cmp_lt_i32_e32 vcc, 5, v16
	v_cmp_eq_u32_e64 s[0:1], 3, v16
	v_lshrrev_b32_e32 v8, 2, v8
	s_or_b64 vcc, s[0:1], vcc
	v_addc_co_u32_e32 v8, vcc, 0, v8, vcc
	v_cmp_gt_i32_e32 vcc, 31, v15
	v_cndmask_b32_e32 v8, v4, v8, vcc
	v_cmp_ne_u32_e32 vcc, 0, v6
	v_cndmask_b32_e64 v6, 0, 1, vcc
	v_lshl_or_b32 v6, v6, 9, v4
	v_cmp_eq_u32_e32 vcc, s16, v15
	v_cndmask_b32_e32 v6, v8, v6, vcc
	v_lshrrev_b32_e32 v8, 16, v1
	s_waitcnt vmcnt(5)
	v_mul_f16_sdwa v15, v8, v11 dst_sel:DWORD dst_unused:UNUSED_PAD src0_sel:DWORD src1_sel:WORD_1
	v_fma_f16 v15, v1, v11, v15
	v_cvt_f32_f16_e32 v15, v15
	v_lshrrev_b32_e32 v7, 16, v7
	v_and_or_b32 v6, v7, s10, v6
	v_and_b32_e32 v0, 0xffff, v0
	v_lshl_or_b32 v0, v6, 16, v0
	v_cvt_f64_f32_e32 v[6:7], v15
	s_mul_i32 s0, s9, 0xc4
	s_mul_hi_u32 s2, s8, 0xc4
	s_add_i32 s2, s2, s0
	v_mul_f64 v[6:7], v[6:7], s[14:15]
	s_mul_i32 s3, s8, 0xc4
	v_mov_b32_e32 v15, s2
	v_add_co_u32_e32 v2, vcc, s3, v2
	v_addc_co_u32_e32 v3, vcc, v3, v15, vcc
	global_store_dword v[2:3], v0, off
	v_and_or_b32 v0, v7, s18, v6
	v_cmp_ne_u32_e32 vcc, 0, v0
	v_cndmask_b32_e64 v0, 0, 1, vcc
	v_lshrrev_b32_e32 v6, 8, v7
	v_bfe_u32 v15, v7, 20, 11
	v_and_or_b32 v6, v6, s17, v0
	v_sub_u32_e32 v16, 0x3f1, v15
	v_or_b32_e32 v0, 0x1000, v6
	v_med3_i32 v16, v16, 0, 13
	v_lshrrev_b32_e32 v17, v16, v0
	v_mul_f16_sdwa v1, v1, v11 dst_sel:DWORD dst_unused:UNUSED_PAD src0_sel:DWORD src1_sel:WORD_1
	v_lshlrev_b32_e32 v16, v16, v17
	v_fma_f16 v1, v11, v8, -v1
	v_cmp_ne_u32_e32 vcc, v16, v0
	v_cvt_f32_f16_e32 v1, v1
	v_cndmask_b32_e64 v0, 0, 1, vcc
	v_add_u32_e32 v15, 0xfffffc10, v15
	v_or_b32_e32 v0, v17, v0
	v_lshl_or_b32 v16, v15, 12, v6
	v_cmp_gt_i32_e32 vcc, 1, v15
	v_cndmask_b32_e32 v0, v16, v0, vcc
	v_and_b32_e32 v16, 7, v0
	v_lshrrev_b32_e32 v8, 2, v0
	v_cvt_f64_f32_e32 v[0:1], v1
	v_cmp_lt_i32_e32 vcc, 5, v16
	v_cmp_eq_u32_e64 s[0:1], 3, v16
	s_or_b64 vcc, s[0:1], vcc
	v_mul_f64 v[0:1], v[0:1], s[14:15]
	v_addc_co_u32_e32 v8, vcc, 0, v8, vcc
	v_cmp_gt_i32_e32 vcc, 31, v15
	v_cndmask_b32_e32 v8, v4, v8, vcc
	v_cmp_ne_u32_e32 vcc, 0, v6
	v_cndmask_b32_e64 v6, 0, 1, vcc
	v_lshl_or_b32 v6, v6, 9, v4
	v_cmp_eq_u32_e32 vcc, s16, v15
	v_and_or_b32 v0, v1, s18, v0
	v_cndmask_b32_e32 v6, v8, v6, vcc
	v_lshrrev_b32_e32 v7, 16, v7
	v_cmp_ne_u32_e32 vcc, 0, v0
	v_and_or_b32 v8, v7, s10, v6
	v_cndmask_b32_e64 v0, 0, 1, vcc
	v_lshrrev_b32_e32 v6, 8, v1
	v_bfe_u32 v7, v1, 20, 11
	v_and_or_b32 v0, v6, s17, v0
	v_sub_u32_e32 v11, 0x3f1, v7
	v_or_b32_e32 v6, 0x1000, v0
	v_med3_i32 v11, v11, 0, 13
	v_lshrrev_b32_e32 v15, v11, v6
	v_lshlrev_b32_e32 v11, v11, v15
	v_cmp_ne_u32_e32 vcc, v11, v6
	v_cndmask_b32_e64 v6, 0, 1, vcc
	v_add_u32_e32 v11, 0xfffffc10, v7
	v_or_b32_e32 v6, v15, v6
	v_lshl_or_b32 v7, v11, 12, v0
	v_cmp_gt_i32_e32 vcc, 1, v11
	v_cndmask_b32_e32 v6, v7, v6, vcc
	v_and_b32_e32 v7, 7, v6
	v_cmp_lt_i32_e32 vcc, 5, v7
	v_cmp_eq_u32_e64 s[0:1], 3, v7
	v_lshrrev_b32_e32 v6, 2, v6
	s_or_b64 vcc, s[0:1], vcc
	v_addc_co_u32_e32 v15, vcc, 0, v6, vcc
	ds_read2_b32 v[6:7], v25 offset0:147 offset1:196
	v_cmp_gt_i32_e32 vcc, 31, v11
	v_cndmask_b32_e32 v15, v4, v15, vcc
	v_cmp_ne_u32_e32 vcc, 0, v0
	v_cndmask_b32_e64 v0, 0, 1, vcc
	s_waitcnt lgkmcnt(0)
	v_lshrrev_b32_e32 v17, 16, v6
	s_waitcnt vmcnt(5)
	v_mul_f16_sdwa v16, v17, v12 dst_sel:DWORD dst_unused:UNUSED_PAD src0_sel:DWORD src1_sel:WORD_1
	v_fma_f16 v16, v6, v12, v16
	v_cvt_f32_f16_e32 v16, v16
	v_lshl_or_b32 v0, v0, 9, v4
	v_cmp_eq_u32_e32 vcc, s16, v11
	v_cndmask_b32_e32 v0, v15, v0, vcc
	v_cvt_f64_f32_e32 v[15:16], v16
	v_lshrrev_b32_e32 v1, 16, v1
	v_and_or_b32 v11, v1, s10, v0
	v_and_b32_e32 v8, 0xffff, v8
	v_mul_f64 v[0:1], v[15:16], s[14:15]
	v_lshl_or_b32 v8, v11, 16, v8
	v_mov_b32_e32 v11, s2
	v_add_co_u32_e32 v2, vcc, s3, v2
	v_addc_co_u32_e32 v3, vcc, v3, v11, vcc
	global_store_dword v[2:3], v8, off
	v_and_or_b32 v0, v1, s18, v0
	v_cmp_ne_u32_e32 vcc, 0, v0
	v_cndmask_b32_e64 v0, 0, 1, vcc
	v_lshrrev_b32_e32 v8, 8, v1
	v_bfe_u32 v11, v1, 20, 11
	v_and_or_b32 v0, v8, s17, v0
	v_sub_u32_e32 v15, 0x3f1, v11
	v_or_b32_e32 v8, 0x1000, v0
	v_med3_i32 v15, v15, 0, 13
	v_lshrrev_b32_e32 v16, v15, v8
	v_lshlrev_b32_e32 v15, v15, v16
	v_mul_f16_sdwa v6, v6, v12 dst_sel:DWORD dst_unused:UNUSED_PAD src0_sel:DWORD src1_sel:WORD_1
	v_cmp_ne_u32_e32 vcc, v15, v8
	v_fma_f16 v6, v12, v17, -v6
	v_cndmask_b32_e64 v8, 0, 1, vcc
	v_add_u32_e32 v15, 0xfffffc10, v11
	v_cvt_f32_f16_e32 v6, v6
	v_or_b32_e32 v8, v16, v8
	v_lshl_or_b32 v11, v15, 12, v0
	v_cmp_gt_i32_e32 vcc, 1, v15
	v_cndmask_b32_e32 v8, v11, v8, vcc
	v_and_b32_e32 v11, 7, v8
	v_cmp_lt_i32_e32 vcc, 5, v11
	v_cmp_eq_u32_e64 s[0:1], 3, v11
	v_cvt_f64_f32_e32 v[11:12], v6
	v_lshrrev_b32_e32 v8, 2, v8
	s_or_b64 vcc, s[0:1], vcc
	v_addc_co_u32_e32 v6, vcc, 0, v8, vcc
	v_mul_f64 v[11:12], v[11:12], s[14:15]
	v_cmp_gt_i32_e32 vcc, 31, v15
	v_cndmask_b32_e32 v6, v4, v6, vcc
	v_cmp_ne_u32_e32 vcc, 0, v0
	v_cndmask_b32_e64 v0, 0, 1, vcc
	v_lshl_or_b32 v0, v0, 9, v4
	v_cmp_eq_u32_e32 vcc, s16, v15
	v_cndmask_b32_e32 v0, v6, v0, vcc
	v_lshrrev_b32_e32 v1, 16, v1
	v_and_or_b32 v6, v1, s10, v0
	v_and_or_b32 v0, v12, s18, v11
	v_cmp_ne_u32_e32 vcc, 0, v0
	v_cndmask_b32_e64 v0, 0, 1, vcc
	v_lshrrev_b32_e32 v1, 8, v12
	v_bfe_u32 v8, v12, 20, 11
	v_and_or_b32 v0, v1, s17, v0
	v_sub_u32_e32 v11, 0x3f1, v8
	v_or_b32_e32 v1, 0x1000, v0
	v_med3_i32 v11, v11, 0, 13
	v_lshrrev_b32_e32 v15, v11, v1
	v_lshlrev_b32_e32 v11, v11, v15
	v_cmp_ne_u32_e32 vcc, v11, v1
	v_cndmask_b32_e64 v1, 0, 1, vcc
	v_add_u32_e32 v8, 0xfffffc10, v8
	v_or_b32_e32 v1, v15, v1
	v_lshl_or_b32 v11, v8, 12, v0
	v_cmp_gt_i32_e32 vcc, 1, v8
	v_cndmask_b32_e32 v1, v11, v1, vcc
	v_and_b32_e32 v11, 7, v1
	v_cmp_lt_i32_e32 vcc, 5, v11
	v_cmp_eq_u32_e64 s[0:1], 3, v11
	v_lshrrev_b32_e32 v11, 16, v7
	v_lshrrev_b32_e32 v1, 2, v1
	s_or_b64 vcc, s[0:1], vcc
	s_waitcnt vmcnt(5)
	v_mul_f16_sdwa v15, v11, v13 dst_sel:DWORD dst_unused:UNUSED_PAD src0_sel:DWORD src1_sel:WORD_1
	v_addc_co_u32_e32 v1, vcc, 0, v1, vcc
	v_fma_f16 v15, v7, v13, v15
	v_cmp_gt_i32_e32 vcc, 31, v8
	v_cvt_f32_f16_e32 v15, v15
	v_cndmask_b32_e32 v1, v4, v1, vcc
	v_cmp_ne_u32_e32 vcc, 0, v0
	v_cndmask_b32_e64 v0, 0, 1, vcc
	v_lshl_or_b32 v0, v0, 9, v4
	v_cmp_eq_u32_e32 vcc, s16, v8
	v_cndmask_b32_e32 v8, v1, v0, vcc
	v_cvt_f64_f32_e32 v[0:1], v15
	v_lshrrev_b32_e32 v12, 16, v12
	v_and_or_b32 v8, v12, s10, v8
	v_and_b32_e32 v6, 0xffff, v6
	v_mul_f64 v[0:1], v[0:1], s[14:15]
	v_lshl_or_b32 v6, v8, 16, v6
	v_mov_b32_e32 v8, s2
	v_add_co_u32_e32 v2, vcc, s3, v2
	v_addc_co_u32_e32 v3, vcc, v3, v8, vcc
	global_store_dword v[2:3], v6, off
	v_and_or_b32 v0, v1, s18, v0
	v_cmp_ne_u32_e32 vcc, 0, v0
	v_cndmask_b32_e64 v0, 0, 1, vcc
	v_lshrrev_b32_e32 v6, 8, v1
	v_bfe_u32 v8, v1, 20, 11
	v_and_or_b32 v0, v6, s17, v0
	v_sub_u32_e32 v12, 0x3f1, v8
	v_or_b32_e32 v6, 0x1000, v0
	v_med3_i32 v12, v12, 0, 13
	v_lshrrev_b32_e32 v15, v12, v6
	v_mul_f16_sdwa v7, v7, v13 dst_sel:DWORD dst_unused:UNUSED_PAD src0_sel:DWORD src1_sel:WORD_1
	v_lshlrev_b32_e32 v12, v12, v15
	v_fma_f16 v7, v13, v11, -v7
	v_cmp_ne_u32_e32 vcc, v12, v6
	v_cvt_f32_f16_e32 v7, v7
	v_cndmask_b32_e64 v6, 0, 1, vcc
	v_add_u32_e32 v8, 0xfffffc10, v8
	v_or_b32_e32 v6, v15, v6
	v_lshl_or_b32 v12, v8, 12, v0
	v_cmp_gt_i32_e32 vcc, 1, v8
	v_cndmask_b32_e32 v6, v12, v6, vcc
	v_and_b32_e32 v12, 7, v6
	v_lshrrev_b32_e32 v11, 2, v6
	v_cvt_f64_f32_e32 v[6:7], v7
	v_cmp_lt_i32_e32 vcc, 5, v12
	v_cmp_eq_u32_e64 s[0:1], 3, v12
	s_or_b64 vcc, s[0:1], vcc
	v_mul_f64 v[6:7], v[6:7], s[14:15]
	v_addc_co_u32_e32 v11, vcc, 0, v11, vcc
	v_cmp_gt_i32_e32 vcc, 31, v8
	v_cndmask_b32_e32 v11, v4, v11, vcc
	v_cmp_ne_u32_e32 vcc, 0, v0
	v_cndmask_b32_e64 v0, 0, 1, vcc
	v_lshl_or_b32 v0, v0, 9, v4
	v_cmp_eq_u32_e32 vcc, s16, v8
	v_cndmask_b32_e32 v0, v11, v0, vcc
	v_lshrrev_b32_e32 v1, 16, v1
	v_and_or_b32 v8, v1, s10, v0
	v_and_or_b32 v0, v7, s18, v6
	v_cmp_ne_u32_e32 vcc, 0, v0
	v_cndmask_b32_e64 v0, 0, 1, vcc
	v_lshrrev_b32_e32 v1, 8, v7
	v_and_or_b32 v6, v1, s17, v0
	v_bfe_u32 v1, v7, 20, 11
	v_sub_u32_e32 v11, 0x3f1, v1
	v_or_b32_e32 v0, 0x1000, v6
	v_med3_i32 v11, v11, 0, 13
	v_lshrrev_b32_e32 v12, v11, v0
	v_lshlrev_b32_e32 v11, v11, v12
	v_cmp_ne_u32_e32 vcc, v11, v0
	v_cndmask_b32_e64 v0, 0, 1, vcc
	v_add_u32_e32 v11, 0xfffffc10, v1
	v_or_b32_e32 v0, v12, v0
	v_lshl_or_b32 v1, v11, 12, v6
	v_cmp_gt_i32_e32 vcc, 1, v11
	v_cndmask_b32_e32 v0, v1, v0, vcc
	v_and_b32_e32 v1, 7, v0
	v_cmp_lt_i32_e32 vcc, 5, v1
	v_cmp_eq_u32_e64 s[0:1], 3, v1
	v_lshrrev_b32_e32 v0, 2, v0
	s_or_b64 vcc, s[0:1], vcc
	v_addc_co_u32_e32 v12, vcc, 0, v0, vcc
	ds_read2_b32 v[0:1], v10 offset0:117 offset1:166
	v_cmp_gt_i32_e32 vcc, 31, v11
	v_cndmask_b32_e32 v10, v4, v12, vcc
	v_cmp_ne_u32_e32 vcc, 0, v6
	v_cndmask_b32_e64 v6, 0, 1, vcc
	s_waitcnt lgkmcnt(0)
	v_lshrrev_b32_e32 v12, 16, v0
	s_waitcnt vmcnt(5)
	v_mul_f16_sdwa v13, v12, v14 dst_sel:DWORD dst_unused:UNUSED_PAD src0_sel:DWORD src1_sel:WORD_1
	v_fma_f16 v13, v0, v14, v13
	v_cvt_f32_f16_e32 v13, v13
	v_lshl_or_b32 v6, v6, 9, v4
	v_cmp_eq_u32_e32 vcc, s16, v11
	v_cndmask_b32_e32 v6, v10, v6, vcc
	v_cvt_f64_f32_e32 v[10:11], v13
	v_lshrrev_b32_e32 v7, 16, v7
	v_and_or_b32 v13, v7, s10, v6
	v_add_co_u32_e32 v2, vcc, s3, v2
	v_mul_f64 v[6:7], v[10:11], s[14:15]
	v_mov_b32_e32 v10, s2
	v_and_b32_e32 v8, 0xffff, v8
	v_addc_co_u32_e32 v3, vcc, v3, v10, vcc
	v_lshl_or_b32 v8, v13, 16, v8
	global_store_dword v[2:3], v8, off
	v_mul_f16_sdwa v0, v0, v14 dst_sel:DWORD dst_unused:UNUSED_PAD src0_sel:DWORD src1_sel:WORD_1
	v_and_or_b32 v6, v7, s18, v6
	v_cmp_ne_u32_e32 vcc, 0, v6
	v_cndmask_b32_e64 v6, 0, 1, vcc
	v_lshrrev_b32_e32 v8, 8, v7
	v_bfe_u32 v10, v7, 20, 11
	v_and_or_b32 v6, v8, s17, v6
	v_sub_u32_e32 v11, 0x3f1, v10
	v_or_b32_e32 v8, 0x1000, v6
	v_med3_i32 v11, v11, 0, 13
	v_lshrrev_b32_e32 v13, v11, v8
	v_lshlrev_b32_e32 v11, v11, v13
	v_cmp_ne_u32_e32 vcc, v11, v8
	v_cndmask_b32_e64 v8, 0, 1, vcc
	v_fma_f16 v0, v14, v12, -v0
	v_or_b32_e32 v8, v13, v8
	v_add_u32_e32 v13, 0xfffffc10, v10
	v_cvt_f32_f16_e32 v0, v0
	v_lshl_or_b32 v10, v13, 12, v6
	v_cmp_gt_i32_e32 vcc, 1, v13
	v_cndmask_b32_e32 v8, v10, v8, vcc
	v_and_b32_e32 v10, 7, v8
	v_cmp_lt_i32_e32 vcc, 5, v10
	v_cmp_eq_u32_e64 s[0:1], 3, v10
	v_cvt_f64_f32_e32 v[10:11], v0
	v_lshrrev_b32_e32 v8, 2, v8
	s_or_b64 vcc, s[0:1], vcc
	v_addc_co_u32_e32 v0, vcc, 0, v8, vcc
	v_mul_f64 v[10:11], v[10:11], s[14:15]
	v_cmp_gt_i32_e32 vcc, 31, v13
	v_cndmask_b32_e32 v0, v4, v0, vcc
	v_cmp_ne_u32_e32 vcc, 0, v6
	v_cndmask_b32_e64 v6, 0, 1, vcc
	v_lshl_or_b32 v6, v6, 9, v4
	v_cmp_eq_u32_e32 vcc, s16, v13
	v_cndmask_b32_e32 v0, v0, v6, vcc
	v_lshrrev_b32_e32 v6, 16, v7
	v_and_or_b32 v0, v6, s10, v0
	v_and_or_b32 v6, v11, s18, v10
	v_cmp_ne_u32_e32 vcc, 0, v6
	v_cndmask_b32_e64 v6, 0, 1, vcc
	v_lshrrev_b32_e32 v7, 8, v11
	v_bfe_u32 v8, v11, 20, 11
	v_and_or_b32 v6, v7, s17, v6
	v_sub_u32_e32 v10, 0x3f1, v8
	v_or_b32_e32 v7, 0x1000, v6
	v_med3_i32 v10, v10, 0, 13
	v_lshrrev_b32_e32 v12, v10, v7
	v_lshlrev_b32_e32 v10, v10, v12
	v_cmp_ne_u32_e32 vcc, v10, v7
	v_cndmask_b32_e64 v7, 0, 1, vcc
	v_add_u32_e32 v8, 0xfffffc10, v8
	v_or_b32_e32 v7, v12, v7
	v_lshl_or_b32 v10, v8, 12, v6
	v_cmp_gt_i32_e32 vcc, 1, v8
	v_cndmask_b32_e32 v7, v10, v7, vcc
	v_and_b32_e32 v10, 7, v7
	v_cmp_lt_i32_e32 vcc, 5, v10
	v_cmp_eq_u32_e64 s[0:1], 3, v10
	v_lshrrev_b32_e32 v7, 2, v7
	s_or_b64 vcc, s[0:1], vcc
	v_addc_co_u32_e32 v7, vcc, 0, v7, vcc
	v_cmp_gt_i32_e32 vcc, 31, v8
	v_cndmask_b32_e32 v7, v4, v7, vcc
	v_cmp_ne_u32_e32 vcc, 0, v6
	v_cndmask_b32_e64 v6, 0, 1, vcc
	v_lshl_or_b32 v6, v6, 9, v4
	v_cmp_eq_u32_e32 vcc, s16, v8
	v_cndmask_b32_e32 v8, v7, v6, vcc
	v_lshrrev_b32_e32 v11, 16, v11
	v_and_or_b32 v8, v11, s10, v8
	global_load_dword v11, v25, s[6:7] offset:1372
	v_lshrrev_b32_e32 v10, 16, v1
	s_waitcnt vmcnt(6)
	v_mul_f16_sdwa v12, v10, v5 dst_sel:DWORD dst_unused:UNUSED_PAD src0_sel:DWORD src1_sel:WORD_1
	v_fma_f16 v12, v1, v5, v12
	v_cvt_f32_f16_e32 v12, v12
	v_and_b32_e32 v0, 0xffff, v0
	v_lshl_or_b32 v0, v8, 16, v0
	v_mov_b32_e32 v8, s2
	v_cvt_f64_f32_e32 v[6:7], v12
	v_add_co_u32_e32 v2, vcc, s3, v2
	v_addc_co_u32_e32 v3, vcc, v3, v8, vcc
	v_mul_f64 v[6:7], v[6:7], s[14:15]
	global_store_dword v[2:3], v0, off
	v_mul_f16_sdwa v1, v1, v5 dst_sel:DWORD dst_unused:UNUSED_PAD src0_sel:DWORD src1_sel:WORD_1
	v_fma_f16 v1, v5, v10, -v1
	v_cvt_f32_f16_e32 v1, v1
	v_and_or_b32 v0, v7, s18, v6
	v_cmp_ne_u32_e32 vcc, 0, v0
	v_cndmask_b32_e64 v0, 0, 1, vcc
	v_lshrrev_b32_e32 v6, 8, v7
	v_bfe_u32 v8, v7, 20, 11
	v_and_or_b32 v6, v6, s17, v0
	v_sub_u32_e32 v12, 0x3f1, v8
	v_or_b32_e32 v0, 0x1000, v6
	v_med3_i32 v12, v12, 0, 13
	v_lshrrev_b32_e32 v13, v12, v0
	v_lshlrev_b32_e32 v12, v12, v13
	v_cmp_ne_u32_e32 vcc, v12, v0
	v_cndmask_b32_e64 v0, 0, 1, vcc
	v_add_u32_e32 v8, 0xfffffc10, v8
	v_or_b32_e32 v0, v13, v0
	v_lshl_or_b32 v12, v8, 12, v6
	v_cmp_gt_i32_e32 vcc, 1, v8
	v_cndmask_b32_e32 v0, v12, v0, vcc
	v_and_b32_e32 v12, 7, v0
	v_lshrrev_b32_e32 v5, 2, v0
	v_cvt_f64_f32_e32 v[0:1], v1
	v_cmp_lt_i32_e32 vcc, 5, v12
	v_cmp_eq_u32_e64 s[0:1], 3, v12
	s_or_b64 vcc, s[0:1], vcc
	v_mul_f64 v[0:1], v[0:1], s[14:15]
	v_addc_co_u32_e32 v5, vcc, 0, v5, vcc
	v_cmp_gt_i32_e32 vcc, 31, v8
	v_cndmask_b32_e32 v5, v4, v5, vcc
	v_cmp_ne_u32_e32 vcc, 0, v6
	v_cndmask_b32_e64 v6, 0, 1, vcc
	v_lshl_or_b32 v6, v6, 9, v4
	v_cmp_eq_u32_e32 vcc, s16, v8
	v_and_or_b32 v0, v1, s18, v0
	v_cndmask_b32_e32 v5, v5, v6, vcc
	v_lshrrev_b32_e32 v6, 16, v7
	v_cmp_ne_u32_e32 vcc, 0, v0
	v_and_or_b32 v10, v6, s10, v5
	v_cndmask_b32_e64 v0, 0, 1, vcc
	v_lshrrev_b32_e32 v5, 8, v1
	v_bfe_u32 v6, v1, 20, 11
	v_and_or_b32 v0, v5, s17, v0
	v_sub_u32_e32 v7, 0x3f1, v6
	v_or_b32_e32 v5, 0x1000, v0
	v_med3_i32 v7, v7, 0, 13
	v_lshrrev_b32_e32 v8, v7, v5
	v_lshlrev_b32_e32 v7, v7, v8
	v_cmp_ne_u32_e32 vcc, v7, v5
	v_cndmask_b32_e64 v5, 0, 1, vcc
	v_add_u32_e32 v7, 0xfffffc10, v6
	v_or_b32_e32 v5, v8, v5
	v_lshl_or_b32 v6, v7, 12, v0
	v_cmp_gt_i32_e32 vcc, 1, v7
	v_cndmask_b32_e32 v5, v6, v5, vcc
	v_and_b32_e32 v6, 7, v5
	v_cmp_lt_i32_e32 vcc, 5, v6
	v_cmp_eq_u32_e64 s[0:1], 3, v6
	v_lshrrev_b32_e32 v5, 2, v5
	s_or_b64 vcc, s[0:1], vcc
	v_addc_co_u32_e32 v8, vcc, 0, v5, vcc
	ds_read2_b32 v[5:6], v9 offset0:87 offset1:136
	global_load_dword v13, v25, s[6:7] offset:1568
	global_load_dword v14, v25, s[6:7] offset:1764
	;; [unrolled: 1-line block ×4, first 2 shown]
	v_cmp_gt_i32_e32 vcc, 31, v7
	v_cndmask_b32_e32 v8, v4, v8, vcc
	v_cmp_ne_u32_e32 vcc, 0, v0
	s_waitcnt lgkmcnt(0)
	v_lshrrev_b32_e32 v12, 16, v5
	s_waitcnt vmcnt(5)
	v_mul_f16_sdwa v17, v12, v11 dst_sel:DWORD dst_unused:UNUSED_PAD src0_sel:DWORD src1_sel:WORD_1
	v_fma_f16 v17, v5, v11, v17
	v_cvt_f32_f16_e32 v17, v17
	v_cndmask_b32_e64 v0, 0, 1, vcc
	v_lshl_or_b32 v0, v0, 9, v4
	v_cmp_eq_u32_e32 vcc, s16, v7
	v_cndmask_b32_e32 v0, v8, v0, vcc
	v_cvt_f64_f32_e32 v[7:8], v17
	v_lshrrev_b32_e32 v1, 16, v1
	v_and_or_b32 v17, v1, s10, v0
	v_add_co_u32_e32 v2, vcc, s3, v2
	v_mul_f64 v[0:1], v[7:8], s[14:15]
	v_mov_b32_e32 v8, s2
	v_and_b32_e32 v10, 0xffff, v10
	v_addc_co_u32_e32 v3, vcc, v3, v8, vcc
	v_lshl_or_b32 v7, v17, 16, v10
	global_store_dword v[2:3], v7, off
	v_mul_f16_sdwa v5, v5, v11 dst_sel:DWORD dst_unused:UNUSED_PAD src0_sel:DWORD src1_sel:WORD_1
	v_and_or_b32 v0, v1, s18, v0
	v_cmp_ne_u32_e32 vcc, 0, v0
	v_cndmask_b32_e64 v0, 0, 1, vcc
	v_lshrrev_b32_e32 v7, 8, v1
	v_bfe_u32 v8, v1, 20, 11
	v_and_or_b32 v0, v7, s17, v0
	v_sub_u32_e32 v10, 0x3f1, v8
	v_or_b32_e32 v7, 0x1000, v0
	v_med3_i32 v10, v10, 0, 13
	v_lshrrev_b32_e32 v17, v10, v7
	v_lshlrev_b32_e32 v10, v10, v17
	v_cmp_ne_u32_e32 vcc, v10, v7
	v_fma_f16 v5, v11, v12, -v5
	v_cndmask_b32_e64 v7, 0, 1, vcc
	v_add_u32_e32 v10, 0xfffffc10, v8
	v_cvt_f32_f16_e32 v5, v5
	v_or_b32_e32 v7, v17, v7
	v_lshl_or_b32 v8, v10, 12, v0
	v_cmp_gt_i32_e32 vcc, 1, v10
	v_cndmask_b32_e32 v7, v8, v7, vcc
	v_and_b32_e32 v8, 7, v7
	v_cmp_lt_i32_e32 vcc, 5, v8
	v_cmp_eq_u32_e64 s[0:1], 3, v8
	v_lshrrev_b32_e32 v11, 2, v7
	v_cvt_f64_f32_e32 v[7:8], v5
	s_or_b64 vcc, s[0:1], vcc
	v_addc_co_u32_e32 v5, vcc, 0, v11, vcc
	v_mul_f64 v[7:8], v[7:8], s[14:15]
	v_cmp_gt_i32_e32 vcc, 31, v10
	v_cndmask_b32_e32 v5, v4, v5, vcc
	v_cmp_ne_u32_e32 vcc, 0, v0
	v_cndmask_b32_e64 v0, 0, 1, vcc
	v_lshl_or_b32 v0, v0, 9, v4
	v_cmp_eq_u32_e32 vcc, s16, v10
	v_cndmask_b32_e32 v0, v5, v0, vcc
	v_lshrrev_b32_e32 v1, 16, v1
	v_and_or_b32 v5, v1, s10, v0
	v_and_or_b32 v0, v8, s18, v7
	v_cmp_ne_u32_e32 vcc, 0, v0
	v_cndmask_b32_e64 v0, 0, 1, vcc
	v_lshrrev_b32_e32 v1, 8, v8
	v_bfe_u32 v7, v8, 20, 11
	v_and_or_b32 v0, v1, s17, v0
	v_sub_u32_e32 v10, 0x3f1, v7
	v_or_b32_e32 v1, 0x1000, v0
	v_med3_i32 v10, v10, 0, 13
	v_lshrrev_b32_e32 v11, v10, v1
	v_lshlrev_b32_e32 v10, v10, v11
	v_cmp_ne_u32_e32 vcc, v10, v1
	v_cndmask_b32_e64 v1, 0, 1, vcc
	v_add_u32_e32 v7, 0xfffffc10, v7
	v_or_b32_e32 v1, v11, v1
	v_lshl_or_b32 v10, v7, 12, v0
	v_cmp_gt_i32_e32 vcc, 1, v7
	v_cndmask_b32_e32 v1, v10, v1, vcc
	v_and_b32_e32 v10, 7, v1
	v_cmp_lt_i32_e32 vcc, 5, v10
	v_cmp_eq_u32_e64 s[0:1], 3, v10
	v_lshrrev_b32_e32 v10, 16, v6
	v_lshrrev_b32_e32 v1, 2, v1
	s_or_b64 vcc, s[0:1], vcc
	s_waitcnt vmcnt(4)
	v_mul_f16_sdwa v11, v10, v13 dst_sel:DWORD dst_unused:UNUSED_PAD src0_sel:DWORD src1_sel:WORD_1
	v_addc_co_u32_e32 v1, vcc, 0, v1, vcc
	v_fma_f16 v11, v6, v13, v11
	v_cmp_gt_i32_e32 vcc, 31, v7
	v_cvt_f32_f16_e32 v11, v11
	v_cndmask_b32_e32 v1, v4, v1, vcc
	v_cmp_ne_u32_e32 vcc, 0, v0
	v_cndmask_b32_e64 v0, 0, 1, vcc
	v_lshl_or_b32 v0, v0, 9, v4
	v_cmp_eq_u32_e32 vcc, s16, v7
	v_cndmask_b32_e32 v7, v1, v0, vcc
	v_cvt_f64_f32_e32 v[0:1], v11
	v_lshrrev_b32_e32 v8, 16, v8
	v_and_or_b32 v7, v8, s10, v7
	v_and_b32_e32 v5, 0xffff, v5
	v_mul_f64 v[0:1], v[0:1], s[14:15]
	v_lshl_or_b32 v5, v7, 16, v5
	v_mov_b32_e32 v7, s2
	v_add_co_u32_e32 v2, vcc, s3, v2
	v_addc_co_u32_e32 v3, vcc, v3, v7, vcc
	global_store_dword v[2:3], v5, off
	v_and_or_b32 v0, v1, s18, v0
	v_cmp_ne_u32_e32 vcc, 0, v0
	v_cndmask_b32_e64 v0, 0, 1, vcc
	v_lshrrev_b32_e32 v5, 8, v1
	v_bfe_u32 v7, v1, 20, 11
	v_and_or_b32 v0, v5, s17, v0
	v_sub_u32_e32 v8, 0x3f1, v7
	v_or_b32_e32 v5, 0x1000, v0
	v_med3_i32 v8, v8, 0, 13
	v_lshrrev_b32_e32 v11, v8, v5
	v_lshlrev_b32_e32 v8, v8, v11
	v_mul_f16_sdwa v6, v6, v13 dst_sel:DWORD dst_unused:UNUSED_PAD src0_sel:DWORD src1_sel:WORD_1
	v_cmp_ne_u32_e32 vcc, v8, v5
	v_fma_f16 v6, v13, v10, -v6
	v_cndmask_b32_e64 v5, 0, 1, vcc
	v_add_u32_e32 v7, 0xfffffc10, v7
	v_cvt_f32_f16_e32 v6, v6
	v_or_b32_e32 v5, v11, v5
	v_lshl_or_b32 v8, v7, 12, v0
	v_cmp_gt_i32_e32 vcc, 1, v7
	v_cndmask_b32_e32 v5, v8, v5, vcc
	v_and_b32_e32 v8, 7, v5
	v_cmp_lt_i32_e32 vcc, 5, v8
	v_cmp_eq_u32_e64 s[0:1], 3, v8
	v_lshrrev_b32_e32 v8, 2, v5
	v_cvt_f64_f32_e32 v[5:6], v6
	s_or_b64 vcc, s[0:1], vcc
	v_addc_co_u32_e32 v8, vcc, 0, v8, vcc
	v_mul_f64 v[5:6], v[5:6], s[14:15]
	v_cmp_gt_i32_e32 vcc, 31, v7
	v_cndmask_b32_e32 v8, v4, v8, vcc
	v_cmp_ne_u32_e32 vcc, 0, v0
	v_cndmask_b32_e64 v0, 0, 1, vcc
	v_lshl_or_b32 v0, v0, 9, v4
	v_cmp_eq_u32_e32 vcc, s16, v7
	v_cndmask_b32_e32 v0, v8, v0, vcc
	v_lshrrev_b32_e32 v1, 16, v1
	v_and_or_b32 v10, v1, s10, v0
	v_and_or_b32 v0, v6, s18, v5
	v_cmp_ne_u32_e32 vcc, 0, v0
	v_cndmask_b32_e64 v0, 0, 1, vcc
	v_lshrrev_b32_e32 v1, 8, v6
	v_and_or_b32 v5, v1, s17, v0
	v_bfe_u32 v1, v6, 20, 11
	v_sub_u32_e32 v7, 0x3f1, v1
	v_or_b32_e32 v0, 0x1000, v5
	v_med3_i32 v7, v7, 0, 13
	v_lshrrev_b32_e32 v8, v7, v0
	v_lshlrev_b32_e32 v7, v7, v8
	v_cmp_ne_u32_e32 vcc, v7, v0
	v_cndmask_b32_e64 v0, 0, 1, vcc
	v_add_u32_e32 v7, 0xfffffc10, v1
	v_or_b32_e32 v0, v8, v0
	v_lshl_or_b32 v1, v7, 12, v5
	v_cmp_gt_i32_e32 vcc, 1, v7
	v_cndmask_b32_e32 v0, v1, v0, vcc
	v_and_b32_e32 v1, 7, v0
	v_cmp_lt_i32_e32 vcc, 5, v1
	v_cmp_eq_u32_e64 s[0:1], 3, v1
	v_lshrrev_b32_e32 v0, 2, v0
	s_or_b64 vcc, s[0:1], vcc
	v_addc_co_u32_e32 v8, vcc, 0, v0, vcc
	ds_read2_b32 v[0:1], v9 offset0:185 offset1:234
	v_cmp_gt_i32_e32 vcc, 31, v7
	v_cndmask_b32_e32 v8, v4, v8, vcc
	v_cmp_ne_u32_e32 vcc, 0, v5
	v_cndmask_b32_e64 v5, 0, 1, vcc
	s_waitcnt lgkmcnt(0)
	v_lshrrev_b32_e32 v9, 16, v0
	s_waitcnt vmcnt(4)
	v_mul_f16_sdwa v11, v9, v14 dst_sel:DWORD dst_unused:UNUSED_PAD src0_sel:DWORD src1_sel:WORD_1
	v_fma_f16 v11, v0, v14, v11
	v_cvt_f32_f16_e32 v11, v11
	v_lshl_or_b32 v5, v5, 9, v4
	v_cmp_eq_u32_e32 vcc, s16, v7
	v_cndmask_b32_e32 v5, v8, v5, vcc
	v_cvt_f64_f32_e32 v[7:8], v11
	v_lshrrev_b32_e32 v6, 16, v6
	v_and_or_b32 v11, v6, s10, v5
	v_add_co_u32_e32 v2, vcc, s3, v2
	v_mul_f64 v[5:6], v[7:8], s[14:15]
	v_mov_b32_e32 v8, s2
	v_and_b32_e32 v10, 0xffff, v10
	v_addc_co_u32_e32 v3, vcc, v3, v8, vcc
	v_lshl_or_b32 v7, v11, 16, v10
	global_store_dword v[2:3], v7, off
	v_mul_f16_sdwa v0, v0, v14 dst_sel:DWORD dst_unused:UNUSED_PAD src0_sel:DWORD src1_sel:WORD_1
	v_and_or_b32 v5, v6, s18, v5
	v_cmp_ne_u32_e32 vcc, 0, v5
	v_cndmask_b32_e64 v5, 0, 1, vcc
	v_lshrrev_b32_e32 v7, 8, v6
	v_bfe_u32 v8, v6, 20, 11
	v_and_or_b32 v5, v7, s17, v5
	v_sub_u32_e32 v10, 0x3f1, v8
	v_or_b32_e32 v7, 0x1000, v5
	v_med3_i32 v10, v10, 0, 13
	v_lshrrev_b32_e32 v11, v10, v7
	v_lshlrev_b32_e32 v10, v10, v11
	v_cmp_ne_u32_e32 vcc, v10, v7
	v_fma_f16 v0, v14, v9, -v0
	v_cndmask_b32_e64 v7, 0, 1, vcc
	v_add_u32_e32 v10, 0xfffffc10, v8
	v_cvt_f32_f16_e32 v0, v0
	v_or_b32_e32 v7, v11, v7
	v_lshl_or_b32 v8, v10, 12, v5
	v_cmp_gt_i32_e32 vcc, 1, v10
	v_cndmask_b32_e32 v7, v8, v7, vcc
	v_and_b32_e32 v8, 7, v7
	v_cmp_lt_i32_e32 vcc, 5, v8
	v_cmp_eq_u32_e64 s[0:1], 3, v8
	v_lshrrev_b32_e32 v9, 2, v7
	v_cvt_f64_f32_e32 v[7:8], v0
	s_or_b64 vcc, s[0:1], vcc
	v_addc_co_u32_e32 v0, vcc, 0, v9, vcc
	v_mul_f64 v[7:8], v[7:8], s[14:15]
	v_cmp_gt_i32_e32 vcc, 31, v10
	v_cndmask_b32_e32 v0, v4, v0, vcc
	v_cmp_ne_u32_e32 vcc, 0, v5
	v_cndmask_b32_e64 v5, 0, 1, vcc
	v_lshl_or_b32 v5, v5, 9, v4
	v_cmp_eq_u32_e32 vcc, s16, v10
	v_cndmask_b32_e32 v0, v0, v5, vcc
	v_lshrrev_b32_e32 v5, 16, v6
	v_and_or_b32 v0, v5, s10, v0
	v_and_or_b32 v5, v8, s18, v7
	v_cmp_ne_u32_e32 vcc, 0, v5
	v_cndmask_b32_e64 v5, 0, 1, vcc
	v_lshrrev_b32_e32 v6, 8, v8
	v_bfe_u32 v7, v8, 20, 11
	v_and_or_b32 v5, v6, s17, v5
	v_sub_u32_e32 v9, 0x3f1, v7
	v_or_b32_e32 v6, 0x1000, v5
	v_med3_i32 v9, v9, 0, 13
	v_lshrrev_b32_e32 v10, v9, v6
	v_lshlrev_b32_e32 v9, v9, v10
	v_cmp_ne_u32_e32 vcc, v9, v6
	v_cndmask_b32_e64 v6, 0, 1, vcc
	v_add_u32_e32 v7, 0xfffffc10, v7
	v_or_b32_e32 v6, v10, v6
	v_lshl_or_b32 v9, v7, 12, v5
	v_cmp_gt_i32_e32 vcc, 1, v7
	v_cndmask_b32_e32 v6, v9, v6, vcc
	v_and_b32_e32 v9, 7, v6
	v_cmp_lt_i32_e32 vcc, 5, v9
	v_cmp_eq_u32_e64 s[0:1], 3, v9
	v_lshrrev_b32_e32 v9, 16, v1
	v_lshrrev_b32_e32 v6, 2, v6
	s_or_b64 vcc, s[0:1], vcc
	s_waitcnt vmcnt(4)
	v_mul_f16_sdwa v10, v9, v15 dst_sel:DWORD dst_unused:UNUSED_PAD src0_sel:DWORD src1_sel:WORD_1
	v_addc_co_u32_e32 v6, vcc, 0, v6, vcc
	v_fma_f16 v10, v1, v15, v10
	v_cmp_gt_i32_e32 vcc, 31, v7
	v_cvt_f32_f16_e32 v10, v10
	v_cndmask_b32_e32 v6, v4, v6, vcc
	v_cmp_ne_u32_e32 vcc, 0, v5
	v_cndmask_b32_e64 v5, 0, 1, vcc
	v_lshl_or_b32 v5, v5, 9, v4
	v_cmp_eq_u32_e32 vcc, s16, v7
	v_cndmask_b32_e32 v7, v6, v5, vcc
	v_cvt_f64_f32_e32 v[5:6], v10
	v_lshrrev_b32_e32 v8, 16, v8
	v_and_or_b32 v7, v8, s10, v7
	v_and_b32_e32 v0, 0xffff, v0
	v_mul_f64 v[5:6], v[5:6], s[14:15]
	v_lshl_or_b32 v0, v7, 16, v0
	v_mov_b32_e32 v7, s2
	v_add_co_u32_e32 v2, vcc, s3, v2
	v_addc_co_u32_e32 v3, vcc, v3, v7, vcc
	global_store_dword v[2:3], v0, off
	v_and_or_b32 v0, v6, s18, v5
	v_cmp_ne_u32_e32 vcc, 0, v0
	v_cndmask_b32_e64 v0, 0, 1, vcc
	v_lshrrev_b32_e32 v5, 8, v6
	v_bfe_u32 v7, v6, 20, 11
	v_and_or_b32 v5, v5, s17, v0
	v_sub_u32_e32 v8, 0x3f1, v7
	v_or_b32_e32 v0, 0x1000, v5
	v_med3_i32 v8, v8, 0, 13
	v_lshrrev_b32_e32 v10, v8, v0
	v_lshlrev_b32_e32 v8, v8, v10
	v_mul_f16_sdwa v1, v1, v15 dst_sel:DWORD dst_unused:UNUSED_PAD src0_sel:DWORD src1_sel:WORD_1
	v_cmp_ne_u32_e32 vcc, v8, v0
	v_fma_f16 v1, v15, v9, -v1
	v_cndmask_b32_e64 v0, 0, 1, vcc
	v_add_u32_e32 v7, 0xfffffc10, v7
	v_cvt_f32_f16_e32 v1, v1
	v_or_b32_e32 v0, v10, v0
	v_lshl_or_b32 v8, v7, 12, v5
	v_cmp_gt_i32_e32 vcc, 1, v7
	v_cndmask_b32_e32 v0, v8, v0, vcc
	v_and_b32_e32 v8, 7, v0
	v_cmp_lt_i32_e32 vcc, 5, v8
	v_cmp_eq_u32_e64 s[0:1], 3, v8
	v_lshrrev_b32_e32 v8, 2, v0
	v_cvt_f64_f32_e32 v[0:1], v1
	s_or_b64 vcc, s[0:1], vcc
	v_addc_co_u32_e32 v8, vcc, 0, v8, vcc
	v_mul_f64 v[0:1], v[0:1], s[14:15]
	v_cmp_gt_i32_e32 vcc, 31, v7
	v_cndmask_b32_e32 v8, v4, v8, vcc
	v_cmp_ne_u32_e32 vcc, 0, v5
	v_cndmask_b32_e64 v5, 0, 1, vcc
	v_lshl_or_b32 v5, v5, 9, v4
	v_cmp_eq_u32_e32 vcc, s16, v7
	v_cndmask_b32_e32 v5, v8, v5, vcc
	v_and_or_b32 v0, v1, s18, v0
	v_lshrrev_b32_e32 v6, 16, v6
	v_cmp_ne_u32_e32 vcc, 0, v0
	v_and_or_b32 v9, v6, s10, v5
	v_cndmask_b32_e64 v0, 0, 1, vcc
	v_lshrrev_b32_e32 v5, 8, v1
	v_bfe_u32 v6, v1, 20, 11
	v_and_or_b32 v0, v5, s17, v0
	v_sub_u32_e32 v7, 0x3f1, v6
	v_or_b32_e32 v5, 0x1000, v0
	v_med3_i32 v7, v7, 0, 13
	v_lshrrev_b32_e32 v8, v7, v5
	v_lshlrev_b32_e32 v7, v7, v8
	v_cmp_ne_u32_e32 vcc, v7, v5
	v_cndmask_b32_e64 v5, 0, 1, vcc
	v_add_u32_e32 v7, 0xfffffc10, v6
	v_or_b32_e32 v5, v8, v5
	v_lshl_or_b32 v6, v7, 12, v0
	v_cmp_gt_i32_e32 vcc, 1, v7
	v_cndmask_b32_e32 v5, v6, v5, vcc
	v_and_b32_e32 v6, 7, v5
	v_cmp_lt_i32_e32 vcc, 5, v6
	v_cmp_eq_u32_e64 s[0:1], 3, v6
	v_lshrrev_b32_e32 v5, 2, v5
	s_or_b64 vcc, s[0:1], vcc
	v_addc_co_u32_e32 v8, vcc, 0, v5, vcc
	v_add_u32_e32 v5, 0x800, v25
	ds_read2_b32 v[5:6], v5 offset0:27 offset1:76
	v_cmp_gt_i32_e32 vcc, 31, v7
	v_cndmask_b32_e32 v8, v4, v8, vcc
	v_cmp_ne_u32_e32 vcc, 0, v0
	v_cndmask_b32_e64 v0, 0, 1, vcc
	s_waitcnt lgkmcnt(0)
	v_lshrrev_b32_e32 v10, 16, v5
	s_waitcnt vmcnt(4)
	v_mul_f16_sdwa v11, v10, v16 dst_sel:DWORD dst_unused:UNUSED_PAD src0_sel:DWORD src1_sel:WORD_1
	v_fma_f16 v11, v5, v16, v11
	v_cvt_f32_f16_e32 v11, v11
	v_lshl_or_b32 v0, v0, 9, v4
	v_cmp_eq_u32_e32 vcc, s16, v7
	v_cndmask_b32_e32 v0, v8, v0, vcc
	v_cvt_f64_f32_e32 v[7:8], v11
	v_lshrrev_b32_e32 v1, 16, v1
	v_and_or_b32 v11, v1, s10, v0
	v_add_co_u32_e32 v2, vcc, s3, v2
	v_mul_f64 v[0:1], v[7:8], s[14:15]
	v_mov_b32_e32 v8, s2
	v_and_b32_e32 v9, 0xffff, v9
	v_addc_co_u32_e32 v3, vcc, v3, v8, vcc
	v_lshl_or_b32 v7, v11, 16, v9
	global_store_dword v[2:3], v7, off
	v_mul_f16_sdwa v5, v5, v16 dst_sel:DWORD dst_unused:UNUSED_PAD src0_sel:DWORD src1_sel:WORD_1
	v_and_or_b32 v0, v1, s18, v0
	v_cmp_ne_u32_e32 vcc, 0, v0
	v_cndmask_b32_e64 v0, 0, 1, vcc
	v_lshrrev_b32_e32 v7, 8, v1
	v_bfe_u32 v8, v1, 20, 11
	v_and_or_b32 v0, v7, s17, v0
	v_sub_u32_e32 v9, 0x3f1, v8
	v_or_b32_e32 v7, 0x1000, v0
	v_med3_i32 v9, v9, 0, 13
	v_lshrrev_b32_e32 v11, v9, v7
	v_lshlrev_b32_e32 v9, v9, v11
	v_cmp_ne_u32_e32 vcc, v9, v7
	v_fma_f16 v5, v16, v10, -v5
	v_cndmask_b32_e64 v7, 0, 1, vcc
	v_add_u32_e32 v9, 0xfffffc10, v8
	v_cvt_f32_f16_e32 v5, v5
	v_or_b32_e32 v7, v11, v7
	v_lshl_or_b32 v8, v9, 12, v0
	v_cmp_gt_i32_e32 vcc, 1, v9
	v_cndmask_b32_e32 v7, v8, v7, vcc
	v_and_b32_e32 v8, 7, v7
	v_cmp_lt_i32_e32 vcc, 5, v8
	v_cmp_eq_u32_e64 s[0:1], 3, v8
	v_lshrrev_b32_e32 v10, 2, v7
	v_cvt_f64_f32_e32 v[7:8], v5
	s_or_b64 vcc, s[0:1], vcc
	v_addc_co_u32_e32 v5, vcc, 0, v10, vcc
	v_mul_f64 v[7:8], v[7:8], s[14:15]
	v_cmp_gt_i32_e32 vcc, 31, v9
	v_cndmask_b32_e32 v5, v4, v5, vcc
	v_cmp_ne_u32_e32 vcc, 0, v0
	v_cndmask_b32_e64 v0, 0, 1, vcc
	v_lshl_or_b32 v0, v0, 9, v4
	v_cmp_eq_u32_e32 vcc, s16, v9
	v_cndmask_b32_e32 v0, v5, v0, vcc
	v_lshrrev_b32_e32 v1, 16, v1
	v_and_or_b32 v0, v1, s10, v0
	v_and_or_b32 v1, v8, s18, v7
	v_cmp_ne_u32_e32 vcc, 0, v1
	v_cndmask_b32_e64 v1, 0, 1, vcc
	v_lshrrev_b32_e32 v5, 8, v8
	v_bfe_u32 v7, v8, 20, 11
	v_and_or_b32 v1, v5, s17, v1
	v_sub_u32_e32 v9, 0x3f1, v7
	v_or_b32_e32 v5, 0x1000, v1
	v_med3_i32 v9, v9, 0, 13
	v_lshrrev_b32_e32 v10, v9, v5
	v_lshlrev_b32_e32 v9, v9, v10
	v_cmp_ne_u32_e32 vcc, v9, v5
	v_cndmask_b32_e64 v5, 0, 1, vcc
	v_add_u32_e32 v7, 0xfffffc10, v7
	v_or_b32_e32 v5, v10, v5
	v_lshl_or_b32 v9, v7, 12, v1
	v_cmp_gt_i32_e32 vcc, 1, v7
	v_cndmask_b32_e32 v5, v9, v5, vcc
	v_and_b32_e32 v9, 7, v5
	v_cmp_lt_i32_e32 vcc, 5, v9
	v_cmp_eq_u32_e64 s[0:1], 3, v9
	v_lshrrev_b32_e32 v5, 2, v5
	s_or_b64 vcc, s[0:1], vcc
	v_addc_co_u32_e32 v5, vcc, 0, v5, vcc
	v_cmp_gt_i32_e32 vcc, 31, v7
	v_cndmask_b32_e32 v5, v4, v5, vcc
	v_cmp_ne_u32_e32 vcc, 0, v1
	v_cndmask_b32_e64 v1, 0, 1, vcc
	v_lshl_or_b32 v1, v1, 9, v4
	v_cmp_eq_u32_e32 vcc, s16, v7
	v_cndmask_b32_e32 v1, v5, v1, vcc
	v_lshrrev_b32_e32 v5, 16, v8
	v_and_or_b32 v1, v5, s10, v1
	v_and_b32_e32 v0, 0xffff, v0
	v_lshl_or_b32 v5, v1, 16, v0
	v_mov_b32_e32 v1, s2
	v_add_co_u32_e32 v0, vcc, s3, v2
	v_addc_co_u32_e32 v1, vcc, v3, v1, vcc
	global_store_dword v[0:1], v5, off
	global_load_dword v5, v25, s[6:7] offset:2352
	v_lshrrev_b32_e32 v7, 16, v6
	s_waitcnt vmcnt(0)
	v_mul_f16_sdwa v2, v7, v5 dst_sel:DWORD dst_unused:UNUSED_PAD src0_sel:DWORD src1_sel:WORD_1
	v_fma_f16 v2, v6, v5, v2
	v_cvt_f32_f16_e32 v2, v2
	v_mul_f16_sdwa v6, v6, v5 dst_sel:DWORD dst_unused:UNUSED_PAD src0_sel:DWORD src1_sel:WORD_1
	v_fma_f16 v5, v5, v7, -v6
	v_cvt_f32_f16_e32 v5, v5
	v_cvt_f64_f32_e32 v[2:3], v2
	v_cvt_f64_f32_e32 v[5:6], v5
	v_mul_f64 v[2:3], v[2:3], s[14:15]
	v_mul_f64 v[5:6], v[5:6], s[14:15]
	v_and_or_b32 v2, v3, s18, v2
	v_cmp_ne_u32_e32 vcc, 0, v2
	v_cndmask_b32_e64 v2, 0, 1, vcc
	v_lshrrev_b32_e32 v8, 8, v3
	v_bfe_u32 v9, v3, 20, 11
	v_and_or_b32 v2, v8, s17, v2
	v_sub_u32_e32 v10, 0x3f1, v9
	v_or_b32_e32 v8, 0x1000, v2
	v_med3_i32 v10, v10, 0, 13
	v_lshrrev_b32_e32 v11, v10, v8
	v_lshlrev_b32_e32 v10, v10, v11
	v_cmp_ne_u32_e32 vcc, v10, v8
	v_cndmask_b32_e64 v8, 0, 1, vcc
	v_add_u32_e32 v9, 0xfffffc10, v9
	v_or_b32_e32 v8, v11, v8
	v_lshl_or_b32 v10, v9, 12, v2
	v_cmp_gt_i32_e32 vcc, 1, v9
	v_cndmask_b32_e32 v8, v10, v8, vcc
	v_and_b32_e32 v10, 7, v8
	v_cmp_lt_i32_e32 vcc, 5, v10
	v_cmp_eq_u32_e64 s[0:1], 3, v10
	v_lshrrev_b32_e32 v7, 2, v8
	s_or_b64 vcc, s[0:1], vcc
	v_addc_co_u32_e32 v7, vcc, 0, v7, vcc
	v_cmp_gt_i32_e32 vcc, 31, v9
	v_cndmask_b32_e32 v7, v4, v7, vcc
	v_cmp_ne_u32_e32 vcc, 0, v2
	v_cndmask_b32_e64 v2, 0, 1, vcc
	v_lshl_or_b32 v2, v2, 9, v4
	v_cmp_eq_u32_e32 vcc, s16, v9
	v_cndmask_b32_e32 v2, v7, v2, vcc
	v_lshrrev_b32_e32 v3, 16, v3
	v_and_or_b32 v2, v3, s10, v2
	v_and_or_b32 v3, v6, s18, v5
	v_cmp_ne_u32_e32 vcc, 0, v3
	v_cndmask_b32_e64 v3, 0, 1, vcc
	v_lshrrev_b32_e32 v5, 8, v6
	v_bfe_u32 v7, v6, 20, 11
	v_and_or_b32 v3, v5, s17, v3
	v_sub_u32_e32 v8, 0x3f1, v7
	v_or_b32_e32 v5, 0x1000, v3
	v_med3_i32 v8, v8, 0, 13
	v_lshrrev_b32_e32 v9, v8, v5
	v_lshlrev_b32_e32 v8, v8, v9
	v_cmp_ne_u32_e32 vcc, v8, v5
	v_cndmask_b32_e64 v5, 0, 1, vcc
	v_add_u32_e32 v7, 0xfffffc10, v7
	v_or_b32_e32 v5, v9, v5
	v_lshl_or_b32 v8, v7, 12, v3
	v_cmp_gt_i32_e32 vcc, 1, v7
	v_cndmask_b32_e32 v5, v8, v5, vcc
	v_and_b32_e32 v8, 7, v5
	v_cmp_lt_i32_e32 vcc, 5, v8
	v_cmp_eq_u32_e64 s[0:1], 3, v8
	v_lshrrev_b32_e32 v5, 2, v5
	s_or_b64 vcc, s[0:1], vcc
	v_addc_co_u32_e32 v5, vcc, 0, v5, vcc
	v_cmp_gt_i32_e32 vcc, 31, v7
	v_cndmask_b32_e32 v5, v4, v5, vcc
	v_cmp_ne_u32_e32 vcc, 0, v3
	v_cndmask_b32_e64 v3, 0, 1, vcc
	v_lshl_or_b32 v3, v3, 9, v4
	v_cmp_eq_u32_e32 vcc, s16, v7
	v_cndmask_b32_e32 v3, v5, v3, vcc
	v_lshrrev_b32_e32 v4, 16, v6
	v_and_or_b32 v3, v4, s10, v3
	v_and_b32_e32 v2, 0xffff, v2
	v_lshl_or_b32 v2, v3, 16, v2
	v_mov_b32_e32 v3, s2
	v_add_co_u32_e32 v0, vcc, s3, v0
	v_addc_co_u32_e32 v1, vcc, v1, v3, vcc
	global_store_dword v[0:1], v2, off
.LBB0_15:
	s_endpgm
	.section	.rodata,"a",@progbits
	.p2align	6, 0x0
	.amdhsa_kernel bluestein_single_fwd_len637_dim1_half_op_CI_CI
		.amdhsa_group_segment_fixed_size 2548
		.amdhsa_private_segment_fixed_size 0
		.amdhsa_kernarg_size 104
		.amdhsa_user_sgpr_count 6
		.amdhsa_user_sgpr_private_segment_buffer 1
		.amdhsa_user_sgpr_dispatch_ptr 0
		.amdhsa_user_sgpr_queue_ptr 0
		.amdhsa_user_sgpr_kernarg_segment_ptr 1
		.amdhsa_user_sgpr_dispatch_id 0
		.amdhsa_user_sgpr_flat_scratch_init 0
		.amdhsa_user_sgpr_private_segment_size 0
		.amdhsa_uses_dynamic_stack 0
		.amdhsa_system_sgpr_private_segment_wavefront_offset 0
		.amdhsa_system_sgpr_workgroup_id_x 1
		.amdhsa_system_sgpr_workgroup_id_y 0
		.amdhsa_system_sgpr_workgroup_id_z 0
		.amdhsa_system_sgpr_workgroup_info 0
		.amdhsa_system_vgpr_workitem_id 0
		.amdhsa_next_free_vgpr 139
		.amdhsa_next_free_sgpr 28
		.amdhsa_reserve_vcc 1
		.amdhsa_reserve_flat_scratch 0
		.amdhsa_float_round_mode_32 0
		.amdhsa_float_round_mode_16_64 0
		.amdhsa_float_denorm_mode_32 3
		.amdhsa_float_denorm_mode_16_64 3
		.amdhsa_dx10_clamp 1
		.amdhsa_ieee_mode 1
		.amdhsa_fp16_overflow 0
		.amdhsa_exception_fp_ieee_invalid_op 0
		.amdhsa_exception_fp_denorm_src 0
		.amdhsa_exception_fp_ieee_div_zero 0
		.amdhsa_exception_fp_ieee_overflow 0
		.amdhsa_exception_fp_ieee_underflow 0
		.amdhsa_exception_fp_ieee_inexact 0
		.amdhsa_exception_int_div_zero 0
	.end_amdhsa_kernel
	.text
.Lfunc_end0:
	.size	bluestein_single_fwd_len637_dim1_half_op_CI_CI, .Lfunc_end0-bluestein_single_fwd_len637_dim1_half_op_CI_CI
                                        ; -- End function
	.section	.AMDGPU.csdata,"",@progbits
; Kernel info:
; codeLenInByte = 18644
; NumSgprs: 32
; NumVgprs: 139
; ScratchSize: 0
; MemoryBound: 0
; FloatMode: 240
; IeeeMode: 1
; LDSByteSize: 2548 bytes/workgroup (compile time only)
; SGPRBlocks: 3
; VGPRBlocks: 34
; NumSGPRsForWavesPerEU: 32
; NumVGPRsForWavesPerEU: 139
; Occupancy: 1
; WaveLimiterHint : 1
; COMPUTE_PGM_RSRC2:SCRATCH_EN: 0
; COMPUTE_PGM_RSRC2:USER_SGPR: 6
; COMPUTE_PGM_RSRC2:TRAP_HANDLER: 0
; COMPUTE_PGM_RSRC2:TGID_X_EN: 1
; COMPUTE_PGM_RSRC2:TGID_Y_EN: 0
; COMPUTE_PGM_RSRC2:TGID_Z_EN: 0
; COMPUTE_PGM_RSRC2:TIDIG_COMP_CNT: 0
	.type	__hip_cuid_148310bd6780e2df,@object ; @__hip_cuid_148310bd6780e2df
	.section	.bss,"aw",@nobits
	.globl	__hip_cuid_148310bd6780e2df
__hip_cuid_148310bd6780e2df:
	.byte	0                               ; 0x0
	.size	__hip_cuid_148310bd6780e2df, 1

	.ident	"AMD clang version 19.0.0git (https://github.com/RadeonOpenCompute/llvm-project roc-6.4.0 25133 c7fe45cf4b819c5991fe208aaa96edf142730f1d)"
	.section	".note.GNU-stack","",@progbits
	.addrsig
	.addrsig_sym __hip_cuid_148310bd6780e2df
	.amdgpu_metadata
---
amdhsa.kernels:
  - .args:
      - .actual_access:  read_only
        .address_space:  global
        .offset:         0
        .size:           8
        .value_kind:     global_buffer
      - .actual_access:  read_only
        .address_space:  global
        .offset:         8
        .size:           8
        .value_kind:     global_buffer
      - .actual_access:  read_only
        .address_space:  global
        .offset:         16
        .size:           8
        .value_kind:     global_buffer
      - .actual_access:  read_only
        .address_space:  global
        .offset:         24
        .size:           8
        .value_kind:     global_buffer
      - .actual_access:  read_only
        .address_space:  global
        .offset:         32
        .size:           8
        .value_kind:     global_buffer
      - .offset:         40
        .size:           8
        .value_kind:     by_value
      - .address_space:  global
        .offset:         48
        .size:           8
        .value_kind:     global_buffer
      - .address_space:  global
        .offset:         56
        .size:           8
        .value_kind:     global_buffer
      - .address_space:  global
        .offset:         64
        .size:           8
        .value_kind:     global_buffer
      - .address_space:  global
        .offset:         72
        .size:           8
        .value_kind:     global_buffer
      - .offset:         80
        .size:           4
        .value_kind:     by_value
      - .address_space:  global
        .offset:         88
        .size:           8
        .value_kind:     global_buffer
      - .address_space:  global
        .offset:         96
        .size:           8
        .value_kind:     global_buffer
    .group_segment_fixed_size: 2548
    .kernarg_segment_align: 8
    .kernarg_segment_size: 104
    .language:       OpenCL C
    .language_version:
      - 2
      - 0
    .max_flat_workgroup_size: 91
    .name:           bluestein_single_fwd_len637_dim1_half_op_CI_CI
    .private_segment_fixed_size: 0
    .sgpr_count:     32
    .sgpr_spill_count: 0
    .symbol:         bluestein_single_fwd_len637_dim1_half_op_CI_CI.kd
    .uniform_work_group_size: 1
    .uses_dynamic_stack: false
    .vgpr_count:     139
    .vgpr_spill_count: 0
    .wavefront_size: 64
amdhsa.target:   amdgcn-amd-amdhsa--gfx906
amdhsa.version:
  - 1
  - 2
...

	.end_amdgpu_metadata
